;; amdgpu-corpus repo=ROCm/aiter kind=harvested arch=n/a opt=n/a

/root/src/amdgpu-assembly/repos/ROCm__aiter/hsa/gfx950/mla/mla_a8w8_qh64_qseqlen4_gqaratio16.co:	file format elf64-amdgpu

Disassembly of section .text:

0000000000002400 <_ZN5aiter33mla_a8w8_qh64_qseqlen4_gqaratio16E>:
	s_and_b32 s1, s1, 0xffff                                   // 000000002400: 8601FF01 0000FFFF
	s_load_dwordx2 s[8:9], s[0:1], 0x0                         // 000000002408: C0060200 00000000
	s_load_dwordx2 s[12:13], s[0:1], 0x10                      // 000000002410: C0060300 00000010
	s_load_dwordx2 s[16:17], s[0:1], 0x20                      // 000000002418: C0060400 00000020
	s_load_dwordx2 s[20:21], s[0:1], 0x30                      // 000000002420: C0060500 00000030
	s_load_dwordx2 s[28:29], s[0:1], 0x40                      // 000000002428: C0060700 00000040
	s_load_dwordx2 s[24:25], s[0:1], 0x50                      // 000000002430: C0060600 00000050
	s_load_dwordx2 s[30:31], s[0:1], 0x60                      // 000000002438: C0060780 00000060
	s_load_dword s64, s[0:1], 0x70                             // 000000002440: C0021000 00000070
	s_load_dword s65, s[0:1], 0x80                             // 000000002448: C0021040 00000080
	s_load_dword s92, s[0:1], 0x90                             // 000000002450: C0021700 00000090
	s_load_dword s66, s[0:1], 0xa0                             // 000000002458: C0021080 000000A0
	s_load_dword s68, s[0:1], 0xb0                             // 000000002460: C0021100 000000B0
	s_load_dword s69, s[0:1], 0xc0                             // 000000002468: C0021140 000000C0
	s_load_dwordx2 s[32:33], s[0:1], 0xd0                      // 000000002470: C0060800 000000D0
	s_load_dwordx2 s[88:89], s[0:1], 0xe0                      // 000000002478: C0061600 000000E0
	s_load_dwordx2 s[40:41], s[0:1], 0x100                     // 000000002480: C0060A00 00000100
	s_load_dwordx2 s[42:43], s[0:1], 0x110                     // 000000002488: C0060A80 00000110
	s_load_dword s62, s[0:1], 0x120                            // 000000002490: C0020F80 00000120
	v_lshrrev_b32_e32 v1, 10, v0                               // 000000002498: 2002008A
	v_lshrrev_b32_e32 v2, 10, v1                               // 00000000249C: 2004028A
	v_and_b32_e32 v2, 0x3ff, v2                                // 0000000024A0: 260404FF 000003FF
	v_and_b32_e32 v1, 0x3ff, v1                                // 0000000024A8: 260202FF 000003FF
	v_and_b32_e32 v0, 0x3ff, v0                                // 0000000024B0: 260000FF 000003FF
	v_lshrrev_b32_e32 v3, 6, v0                                // 0000000024B8: 20060086
	v_and_b32_e32 v0, 63, v0                                   // 0000000024BC: 260000BF
	s_mov_b32 s2, s2                                           // 0000000024C0: BE820002
	s_mov_b32 s3, s3                                           // 0000000024C4: BE830003
	s_mov_b32 s4, s4                                           // 0000000024C8: BE840004
	v_readfirstlane_b32 s7, v3                                 // 0000000024CC: 7E0E0503
	s_waitcnt lgkmcnt(0)                                       // 0000000024D0: BF8CC07F
	s_mul_i32 s56, s3, 4                                       // 0000000024D4: 92388403
	s_and_b32 s29, s29, 0xffff                                 // 0000000024D8: 861DFF1D 0000FFFF
	s_and_b32 s31, s31, 0xffff                                 // 0000000024E0: 861FFF1F 0000FFFF
	s_add_u32 s28, s56, s28                                    // 0000000024E8: 801C1C38
	s_addc_u32 s29, 0, s29                                     // 0000000024EC: 821D1D80
	s_load_dword s47, s[28:29], 0x0                            // 0000000024F0: C0020BCE 00000000
	s_load_dword s46, s[28:29], 0x4                            // 0000000024F8: C0020B8E 00000004
	s_mul_i32 s56, s3, 4                                       // 000000002500: 92388403
	s_and_b32 s89, s89, 0xffff                                 // 000000002504: 8659FF59 0000FFFF
	s_add_u32 s88, s56, s88                                    // 00000000250C: 80585838
	s_addc_u32 s89, 0, s89                                     // 000000002510: 82595980
	s_load_dword s86, s[88:89], 0x0                            // 000000002514: C00215AC 00000000
	s_load_dword s85, s[88:89], 0x4                            // 00000000251C: C002156C 00000004
	s_and_b32 s33, s33, 0xffff                                 // 000000002524: 8621FF21 0000FFFF
	s_add_u32 s32, s56, s32                                    // 00000000252C: 80202038
	s_addc_u32 s33, 0, s33                                     // 000000002530: 82212180
	s_load_dword s79, s[32:33], 0x0                            // 000000002534: C00213D0 00000000
	s_load_dword s78, s[32:33], 0x4                            // 00000000253C: C0021390 00000004
	s_waitcnt lgkmcnt(0)                                       // 000000002544: BF8CC07F
	s_sub_u32 s87, s85, s86                                    // 000000002548: 80D75655
	s_cmp_le_u32 s87, s4                                       // 00000000254C: BF0B0457
	s_cbranch_scc1 label_AD98                                  // 000000002550: BF852B11
	s_mov_b32 s67, s87                                         // 000000002554: BEC30057
	s_sub_u32 s81, s78, s79                                    // 000000002558: 80D14F4E
	s_mul_i32 s56, 0x800, s65                                  // 00000000255C: 923841FF 00000800
	s_mul_i32 s57, 0x400, s65                                  // 000000002564: 923941FF 00000400
	s_cmp_eq_u32 s67, 1                                        // 00000000256C: BF068143
	s_cselect_b32 s75, s57, s56                                // 000000002570: 854B3839
	s_mul_i32 s74, 0x240, s65                                  // 000000002574: 924A41FF 00000240
	s_mul_i32 s56, 4, s65                                      // 00000000257C: 92384184
	s_mov_b32 s10, s75                                         // 000000002580: BE8A004B
	s_mov_b32 s18, s74                                         // 000000002584: BE92004A
	s_mov_b32 s14, s56                                         // 000000002588: BE8E0038
	s_mov_b32 s22, -16                                         // 00000000258C: BE9600D0
	s_mov_b32 s26, -16                                         // 000000002590: BE9A00D0
	s_mov_b32 s11, 0x20000                                     // 000000002594: BE8B00FF 00020000
	s_mov_b32 s19, 0x20000                                     // 00000000259C: BE9300FF 00020000
	s_mov_b32 s15, 0x20000                                     // 0000000025A4: BE8F00FF 00020000
	s_mov_b32 s23, 0x20000                                     // 0000000025AC: BE9700FF 00020000
	s_mov_b32 s27, 0x20000                                     // 0000000025B4: BE9B00FF 00020000
	s_and_b32 s9, s9, 0xffff                                   // 0000000025BC: 8609FF09 0000FFFF
	s_and_b32 s17, s17, 0xffff                                 // 0000000025C4: 8611FF11 0000FFFF
	s_and_b32 s13, s13, 0xffff                                 // 0000000025CC: 860DFF0D 0000FFFF
	s_and_b32 s21, s21, 0xffff                                 // 0000000025D4: 8615FF15 0000FFFF
	s_and_b32 s25, s25, 0xffff                                 // 0000000025DC: 8619FF19 0000FFFF
	s_and_b32 s41, s41, 0xffff                                 // 0000000025E4: 8629FF29 0000FFFF
	s_and_b32 s43, s43, 0xffff                                 // 0000000025EC: 862BFF2B 0000FFFF
	s_or_b32 s9, s9, 0x40000                                   // 0000000025F4: 8709FF09 00040000
	s_or_b32 s17, s17, 0x40000                                 // 0000000025FC: 8711FF11 00040000
	s_or_b32 s13, s13, 0x40000                                 // 000000002604: 870DFF0D 00040000
	s_or_b32 s21, s21, 0x40000                                 // 00000000260C: 8715FF15 00040000
	s_or_b32 s25, s25, 0x40000                                 // 000000002614: 8719FF19 00040000
	s_waitcnt lgkmcnt(0)                                       // 00000000261C: BF8CC07F
	s_load_dword s60, s[40:41], 0x0                            // 000000002620: C0020F14 00000000
	s_load_dword s61, s[42:43], 0x0                            // 000000002628: C0020F55 00000000
	s_mov_b32 s69, 0                                           // 000000002630: BEC50080
	s_lshr_b32 s44, 64, s69                                    // 000000002634: 8F2C45C0
	s_mul_i32 s73, s44, 4                                      // 000000002638: 9249842C
	s_mul_i32 s73, s73, s67                                    // 00000000263C: 92494349
	s_mul_i32 s45, s4, s44                                     // 000000002640: 922D2C04
	s_sub_u32 s50, s46, s47                                    // 000000002644: 80B22F2E
	s_sub_i32 s82, s50, s81                                    // 000000002648: 81D25132
	s_mov_b32 s84, 64                                          // 00000000264C: BED400C0
	s_cmp_le_u32 s50, s45                                      // 000000002650: BF0B2D32
	s_cbranch_scc1 label_AD98                                  // 000000002654: BF852AD0
	s_mul_i32 s56, s50, 4                                      // 000000002658: 92388432
	s_mov_b32 s26, s56                                         // 00000000265C: BE9A0038
	s_mul_i32 s56, s47, 4                                      // 000000002660: 9238842F
	s_add_u32 s24, s56, s24                                    // 000000002664: 80181838
	s_addc_u32 s25, 0, s25                                     // 000000002668: 82191980
	s_mov_b32 s70, 0                                           // 00000000266C: BEC60080
	s_sub_u32 s71, s50, s45                                    // 000000002670: 80C72D32
	s_mul_i32 s37, s67, s44                                    // 000000002674: 92252C43
	s_mov_b32 s36, s71                                         // 000000002678: BEA40047
	v_cvt_f32_u32_e32 v35, s37                                 // 00000000267C: 7E460C25
	s_sub_i32 s56, 0, s37                                      // 000000002680: 81B82580
	v_rcp_iflag_f32_e32 v35, v35                               // 000000002684: 7E464723
	s_nop 0                                                    // 000000002688: BF800000
	v_mul_f32_e32 v35, 0x4f7ffffe, v35                         // 00000000268C: 0A4646FF 4F7FFFFE
	v_cvt_u32_f32_e32 v35, v35                                 // 000000002694: 7E460F23
	v_mul_lo_u32 v36, s56, v35                                 // 000000002698: D2850024 00024638
	v_mul_hi_u32 v36, v35, v36                                 // 0000000026A0: D2860024 00024923
	v_add_u32_e32 v35, v35, v36                                // 0000000026A8: 68464923
	v_mul_hi_u32 v35, s36, v35                                 // 0000000026AC: D2860023 00024624
	v_mul_lo_u32 v36, v35, s37                                 // 0000000026B4: D2850024 00004B23
	v_sub_u32_e32 v38, s36, v36                                // 0000000026BC: 6A4C4824
	v_add_u32_e32 v37, 1, v35                                  // 0000000026C0: 684A4681
	v_cmp_le_u32_e32 vcc, s37, v38                             // 0000000026C4: 7D964C25
	v_subrev_u32_e32 v36, s37, v38                             // 0000000026C8: 6C484C25
	s_nop 0                                                    // 0000000026CC: BF800000
	v_cndmask_b32_e32 v35, v35, v37, vcc                       // 0000000026D0: 00464B23
	v_cndmask_b32_e32 v38, v38, v36, vcc                       // 0000000026D4: 004C4926
	v_add_u32_e32 v36, 1, v35                                  // 0000000026D8: 68484681
	v_cmp_le_u32_e32 vcc, s37, v38                             // 0000000026DC: 7D964C25
	s_nop 1                                                    // 0000000026E0: BF800001
	v_cndmask_b32_e32 v38, v35, v36, vcc                       // 0000000026E4: 004C4923
	s_nop 3                                                    // 0000000026E8: BF800003
	v_readfirstlane_b32 s38, v38                               // 0000000026EC: 7E4C0526
	s_nop 3                                                    // 0000000026F0: BF800003
	s_mov_b32 s71, s38                                         // 0000000026F4: BEC70026
	s_mul_i32 s56, s71, s37                                    // 0000000026F8: 92382547
	s_sub_u32 s56, s36, s56                                    // 0000000026FC: 80B83824
	s_mov_b32 s57, 0                                           // 000000002700: BEB90080
	s_cmp_lt_u32 s56, s44                                      // 000000002704: BF0A2C38
	s_cselect_b32 s57, s57, 1                                  // 000000002708: 85398139
	s_add_u32 s71, s57, s71                                    // 00000000270C: 80474739
	s_cmpk_eq_u32 s57, 0x1                                     // 000000002710: B4390001
	s_cselect_b32 s49, 0, s56                                  // 000000002714: 85313880
	s_mov_b32 s48, s49                                         // 000000002718: BEB00031
	v_lshrrev_b32_e32 v35, 2, v0                               // 00000000271C: 20460082
	s_mul_i32 s56, s7, 16                                      // 000000002720: 92389007
	v_add_u32_e64 v34, v35, s56                                // 000000002724: D1340022 00007123
	v_add_u32_e32 v34, s45, v34                                // 00000000272C: 6844442D
	v_lshlrev_b32_e32 v34, 2, v34                              // 000000002730: 24444482
	buffer_load_dword v30, v34, s[24:27], 0 offen              // 000000002734: E0501000 80061E22
	v_add_u32_e32 v34, s73, v34                                // 00000000273C: 68444449
	buffer_load_dword v31, v34, s[24:27], 0 offen              // 000000002740: E0501000 80061F22
	v_add_u32_e32 v34, s73, v34                                // 000000002748: 68444449
	s_mul_i32 s56, 0x240, 16                                   // 00000000274C: 923890FF 00000240
	s_mul_i32 s56, s79, s56                                    // 000000002754: 9238384F
	s_add_u32 s16, s56, s16                                    // 000000002758: 80101038
	s_addc_u32 s17, 0, s17                                     // 00000000275C: 82111180
	s_mul_i32 s56, s7, 0x400                                   // 000000002760: 9238FF07 00000400
	s_add_u32 m0, 0x2000, s56                                  // 000000002768: 807C38FF 00002000
	v_and_b32_e32 v35, 3, v0                                   // 000000002770: 26460083
	v_mov_b32_e32 v36, 0                                       // 000000002774: 7E480280
	s_mov_b32 s56, 0                                           // 000000002778: BEB80080
	s_mov_b32 s57, -1                                          // 00000000277C: BEB900C1
	v_cndmask_b32_e64 v37, v36, v35, s[56:57]                  // 000000002780: D1000025 00E24724
	s_nop 2                                                    // 000000002788: BF800002
	v_mov_b32_dpp v37, v37 quad_perm:[2,3,0,1] row_mask:0xf bank_mask:0xf// 00000000278C: 7E4A02FA FF004E25
	v_cndmask_b32_e64 v38, v35, v37, s[56:57]                  // 000000002794: D1000026 00E24B23
	v_lshlrev_b32_e32 v38, 4, v38                              // 00000000279C: 244C4C84
	v_mov_b32_e32 v1, v38                                      // 0000000027A0: 7E020326
	v_lshrrev_b32_e32 v35, 2, v0                               // 0000000027A4: 20460082
	s_mov_b32 s56, 0x240                                       // 0000000027A8: BEB800FF 00000240
	v_mul_i32_i24_e64 v35, v35, s56                            // 0000000027B0: D1060023 00007123
	s_mul_i32 s56, s7, 64                                      // 0000000027B8: 9238C007
	v_add_u32_e32 v36, v35, v38                                // 0000000027BC: 68484D23
	v_add_u32_e64 v36, v36, s56                                // 0000000027C0: D1340024 00007124
	buffer_load_dwordx4 v36, s[16:19], 0 offen lds             // 0000000027C8: E05D1000 80040024
	s_add_u32 m0, m0, 0x1000                                   // 0000000027D0: 807CFF7C 00001000
	v_add_u32_e32 v36, 0x100, v36                              // 0000000027D8: 684848FF 00000100
	buffer_load_dwordx4 v36, s[16:19], 0 offen lds             // 0000000027E0: E05D1000 80040024
	s_add_u32 m0, m0, 0x1000                                   // 0000000027E8: 807CFF7C 00001000
	v_add_u32_e32 v36, 0x100, v36                              // 0000000027F0: 684848FF 00000100
	buffer_load_dwordx4 v36, s[16:19], 0 offen lds             // 0000000027F8: E05D1000 80040024
	s_add_u32 m0, m0, 0x1000                                   // 000000002800: 807CFF7C 00001000
	v_add_u32_e32 v36, 0x100, v36                              // 000000002808: 684848FF 00000100
	v_add_u32_e32 v36, 0x2100, v36                             // 000000002810: 684848FF 00002100
	buffer_load_dwordx4 v36, s[16:19], 0 offen lds             // 000000002818: E05D1000 80040024
	s_add_u32 m0, m0, 0x1000                                   // 000000002820: 807CFF7C 00001000
	v_add_u32_e32 v36, 0x100, v36                              // 000000002828: 684848FF 00000100
	buffer_load_dwordx4 v36, s[16:19], 0 offen lds             // 000000002830: E05D1000 80040024
	s_add_u32 m0, m0, 0x1000                                   // 000000002838: 807CFF7C 00001000
	v_add_u32_e32 v36, 0x100, v36                              // 000000002840: 684848FF 00000100
	;; [unrolled: 3-line block ×3, first 2 shown]
	v_add_u32_e32 v36, 0x2100, v36                             // 000000002860: 684848FF 00002100
	buffer_load_dwordx4 v36, s[16:19], 0 offen lds             // 000000002868: E05D1000 80040024
	s_add_u32 m0, m0, 0x1000                                   // 000000002870: 807CFF7C 00001000
	v_add_u32_e32 v36, 0x100, v36                              // 000000002878: 684848FF 00000100
	buffer_load_dwordx4 v36, s[16:19], 0 offen lds             // 000000002880: E05D1000 80040024
	s_add_u32 m0, m0, 0x1000                                   // 000000002888: 807CFF7C 00001000
	v_add_u32_e32 v36, 0x100, v36                              // 000000002890: 684848FF 00000100
	buffer_load_dwordx4 v36, s[16:19], 0 offen lds             // 000000002898: E05D1000 80040024
	s_add_u32 m0, m0, 0x1000                                   // 0000000028A0: 807CFF7C 00001000
	v_add_u32_e32 v36, 0x100, v36                              // 0000000028A8: 684848FF 00000100
	v_add_u32_e32 v36, 0x2100, v36                             // 0000000028B0: 684848FF 00002100
	buffer_load_dwordx4 v36, s[16:19], 0 offen lds             // 0000000028B8: E05D1000 80040024
	s_add_u32 m0, m0, 0x1000                                   // 0000000028C0: 807CFF7C 00001000
	v_add_u32_e32 v36, 0x100, v36                              // 0000000028C8: 684848FF 00000100
	buffer_load_dwordx4 v36, s[16:19], 0 offen lds             // 0000000028D0: E05D1000 80040024
	s_add_u32 m0, m0, 0x1000                                   // 0000000028D8: 807CFF7C 00001000
	v_add_u32_e32 v36, 0x100, v36                              // 0000000028E0: 684848FF 00000100
	buffer_load_dwordx4 v36, s[16:19], 0 offen lds             // 0000000028E8: E05D1000 80040024
	s_add_u32 m0, m0, 0x1000                                   // 0000000028F0: 807CFF7C 00001000
	v_add_u32_e32 v36, 0x100, v36                              // 0000000028F8: 684848FF 00000100
	v_add_u32_e32 v36, 0x2100, v36                             // 000000002900: 684848FF 00002100
	s_mov_b32 s52, 0x7060302                                   // 000000002908: BEB400FF 07060302
	s_mov_b32 s53, 0x5040100                                   // 000000002910: BEB500FF 05040100
	s_mul_i32 s51, s7, 4                                       // 000000002918: 92338407
	s_mov_b32 s6, 0x3fb8aa3b                                   // 00000000291C: BE8600FF 3FB8AA3B
	v_mov_b32_e32 v36, s6                                      // 000000002924: 7E480206
	v_mov_b32_e32 v35, s64                                     // 000000002928: 7E460240
	v_mul_f32_e32 v35, s6, v35                                 // 00000000292C: 0A464606
	v_rcp_f32_e32 v36, v36                                     // 000000002930: 7E484524
	v_mov_b32_e32 v2, 0xff800000                               // 000000002934: 7E0402FF FF800000
	v_mov_b32_e32 v21, 0                                       // 00000000293C: 7E2A0280
	v_mov_b32_e32 v4, 0                                        // 000000002940: 7E080280
	v_readfirstlane_b32 s5, v35                                // 000000002944: 7E0A0523
	v_readfirstlane_b32 s63, v36                               // 000000002948: 7E7E0524
	s_waitcnt lgkmcnt(0)                                       // 00000000294C: BF8CC07F
	v_mov_b32_e32 v35, s60                                     // 000000002950: 7E46023C
	v_mul_f32_e32 v35, s61, v35                                // 000000002954: 0A46463D
	v_mul_f32_e32 v36, s5, v35                                 // 000000002958: 0A484605
	v_mul_f32_e32 v38, s64, v35                                // 00000000295C: 0A4C4640
	v_readfirstlane_b32 s5, v36                                // 000000002960: 7E0A0524
	v_readfirstlane_b32 s64, v38                               // 000000002964: 7E800526
	v_and_b32_e32 v35, 15, v0                                  // 000000002968: 2646008F
	v_lshlrev_b32_e32 v35, 4, v35                              // 00000000296C: 24464684
	v_and_b32_e32 v36, 31, v0                                  // 000000002970: 2648009F
	v_lshrrev_b32_e32 v36, 4, v36                              // 000000002974: 20484884
	s_mov_b32 s56, 0xc00                                       // 000000002978: BEB800FF 00000C00
	v_mul_i32_i24_e32 v36, s56, v36                            // 000000002980: 0C484838
	v_add_u32_e32 v222, v35, v36                               // 000000002984: 69BC4923
	v_mov_b32_e32 v223, v222                                   // 000000002988: 7FBE03DE
	v_and_b32_e32 v35, 15, v0                                  // 00000000298C: 2646008F
	v_lshrrev_b32_e32 v35, 3, v35                              // 000000002990: 20464683
	v_lshlrev_b32_e32 v35, 3, v35                              // 000000002994: 24464683
	v_lshrrev_b32_e32 v36, 5, v0                               // 000000002998: 20480085
	v_lshlrev_b32_e32 v36, 2, v36                              // 00000000299C: 24484882
	v_add_u32_e32 v222, v222, v35                              // 0000000029A0: 69BC47DE
	v_add_u32_e32 v222, v222, v36                              // 0000000029A4: 69BC49DE
	v_and_b32_e32 v35, 15, v0                                  // 0000000029A8: 2646008F
	v_lshrrev_b32_e32 v35, 3, v35                              // 0000000029AC: 20464683
	s_mov_b32 s56, 1                                           // 0000000029B0: BEB80081
	v_mov_b32_e32 v36, s56                                     // 0000000029B4: 7E480238
	v_xor_b32_e32 v35, v36, v35                                // 0000000029B8: 2A464724
	v_lshlrev_b32_e32 v35, 3, v35                              // 0000000029BC: 24464683
	v_lshrrev_b32_e32 v36, 5, v0                               // 0000000029C0: 20480085
	v_lshlrev_b32_e32 v36, 2, v36                              // 0000000029C4: 24484882
	v_add_u32_e32 v223, v223, v35                              // 0000000029C8: 69BE47DF
	v_add_u32_e32 v223, v223, v36                              // 0000000029CC: 69BE49DF
	s_mov_b32 s56, 0                                           // 0000000029D0: BEB80080
	v_lshlrev_b32_e32 v222, 2, v222                            // 0000000029D4: 25BDBC82
	v_lshlrev_b32_e32 v223, 2, v223                            // 0000000029D8: 25BFBE82
	s_lshr_b32 s57, s7, 1                                      // 0000000029DC: 8F398107
	s_mul_i32 s56, s57, 0x6000                                 // 0000000029E0: 9238FF39 00006000
	v_add_u32_e32 v222, s56, v222                              // 0000000029E8: 69BDBC38
	v_add_u32_e32 v223, s56, v223                              // 0000000029EC: 69BFBE38
	s_waitcnt vmcnt(0)                                         // 0000000029F0: BF8C0F70
	s_barrier                                                  // 0000000029F4: BF8A0000
	ds_read_b128 a[0:3], v222 offset:8192                      // 0000000029F8: DBFE2000 000000DE
	ds_read_b128 a[8:11], v222 offset:9216                     // 000000002A00: DBFE2400 080000DE
	ds_read_b128 a[16:19], v222 offset:10240                   // 000000002A08: DBFE2800 100000DE
	ds_read_b128 a[24:27], v222 offset:11264                   // 000000002A10: DBFE2C00 180000DE
	ds_read_b128 a[32:35], v222 offset:12288                   // 000000002A18: DBFE3000 200000DE
	ds_read_b128 a[40:43], v222 offset:13312                   // 000000002A20: DBFE3400 280000DE
	ds_read_b128 a[48:51], v222 offset:14336                   // 000000002A28: DBFE3800 300000DE
	ds_read_b128 a[56:59], v222 offset:15360                   // 000000002A30: DBFE3C00 380000DE
	ds_read_b128 a[64:67], v222 offset:16384                   // 000000002A38: DBFE4000 400000DE
	ds_read_b128 a[4:7], v223 offset:8192                      // 000000002A40: DBFE2000 040000DF
	ds_read_b128 a[12:15], v223 offset:9216                    // 000000002A48: DBFE2400 0C0000DF
	ds_read_b128 a[20:23], v223 offset:10240                   // 000000002A50: DBFE2800 140000DF
	ds_read_b128 a[28:31], v223 offset:11264                   // 000000002A58: DBFE2C00 1C0000DF
	ds_read_b128 a[36:39], v223 offset:12288                   // 000000002A60: DBFE3000 240000DF
	ds_read_b128 a[44:47], v223 offset:13312                   // 000000002A68: DBFE3400 2C0000DF
	ds_read_b128 a[52:55], v223 offset:14336                   // 000000002A70: DBFE3800 340000DF
	ds_read_b128 a[60:63], v223 offset:15360                   // 000000002A78: DBFE3C00 3C0000DF
	ds_read_b128 a[68:71], v223 offset:16384                   // 000000002A80: DBFE4000 440000DF
	v_lshlrev_b32_e32 v35, 2, v0                               // 000000002A88: 24460082
	s_mov_b32 s56, 0x200                                       // 000000002A8C: BEB800FF 00000200
	s_lshr_b32 s57, s7, 1                                      // 000000002A94: 8F398107
	s_mul_i32 s56, s57, s56                                    // 000000002A98: 92383839
	v_add_u32_e32 v40, s56, v35                                // 000000002A9C: 68504638
	v_lshlrev_b32_e32 v35, 2, v0                               // 000000002AA0: 24460082
	s_mov_b32 s56, 0x100                                       // 000000002AA4: BEB800FF 00000100
	s_mul_i32 s56, s7, s56                                     // 000000002AAC: 92383807
	v_add_u32_e32 v41, s56, v35                                // 000000002AB0: 68524638
	v_lshlrev_b32_e32 v35, 4, v0                               // 000000002AB4: 24460084
	s_mov_b32 s56, 0x800                                       // 000000002AB8: BEB800FF 00000800
	s_lshr_b32 s57, s7, 1                                      // 000000002AC0: 8F398107
	s_mul_i32 s56, s57, s56                                    // 000000002AC4: 92383839
	v_add_u32_e32 v42, s56, v35                                // 000000002AC8: 68544638
	v_lshlrev_b32_e32 v35, 4, v0                               // 000000002ACC: 24460084
	s_mov_b32 s56, 0x400                                       // 000000002AD0: BEB800FF 00000400
	s_mul_i32 s56, s7, s56                                     // 000000002AD8: 92383807
	v_add_u32_e32 v43, s56, v35                                // 000000002ADC: 68564638
	v_mov_b32_e32 v76, 0                                       // 000000002AE0: 7E980280
	v_mov_b32_e32 v77, 0                                       // 000000002AE4: 7E9A0280
	v_mov_b32_e32 v78, 0                                       // 000000002AE8: 7E9C0280
	v_mov_b32_e32 v79, 0                                       // 000000002AEC: 7E9E0280
	v_mov_b32_e32 v80, 0                                       // 000000002AF0: 7EA00280
	v_mov_b32_e32 v81, 0                                       // 000000002AF4: 7EA20280
	v_mov_b32_e32 v82, 0                                       // 000000002AF8: 7EA40280
	v_mov_b32_e32 v83, 0                                       // 000000002AFC: 7EA60280
	v_mov_b32_e32 v84, 0                                       // 000000002B00: 7EA80280
	v_mov_b32_e32 v85, 0                                       // 000000002B04: 7EAA0280
	v_mov_b32_e32 v86, 0                                       // 000000002B08: 7EAC0280
	v_mov_b32_e32 v87, 0                                       // 000000002B0C: 7EAE0280
	v_mov_b32_e32 v88, 0                                       // 000000002B10: 7EB00280
	v_mov_b32_e32 v89, 0                                       // 000000002B14: 7EB20280
	v_mov_b32_e32 v90, 0                                       // 000000002B18: 7EB40280
	v_mov_b32_e32 v91, 0                                       // 000000002B1C: 7EB60280
	v_mov_b32_e32 v92, 0                                       // 000000002B20: 7EB80280
	v_mov_b32_e32 v93, 0                                       // 000000002B24: 7EBA0280
	v_mov_b32_e32 v94, 0                                       // 000000002B28: 7EBC0280
	v_mov_b32_e32 v95, 0                                       // 000000002B2C: 7EBE0280
	v_mov_b32_e32 v96, 0                                       // 000000002B30: 7EC00280
	v_mov_b32_e32 v97, 0                                       // 000000002B34: 7EC20280
	v_mov_b32_e32 v98, 0                                       // 000000002B38: 7EC40280
	v_mov_b32_e32 v99, 0                                       // 000000002B3C: 7EC60280
	v_mov_b32_e32 v100, 0                                      // 000000002B40: 7EC80280
	v_mov_b32_e32 v101, 0                                      // 000000002B44: 7ECA0280
	v_mov_b32_e32 v102, 0                                      // 000000002B48: 7ECC0280
	v_mov_b32_e32 v103, 0                                      // 000000002B4C: 7ECE0280
	v_mov_b32_e32 v104, 0                                      // 000000002B50: 7ED00280
	v_mov_b32_e32 v105, 0                                      // 000000002B54: 7ED20280
	v_mov_b32_e32 v106, 0                                      // 000000002B58: 7ED40280
	v_mov_b32_e32 v107, 0                                      // 000000002B5C: 7ED60280
	v_mov_b32_e32 v108, 0                                      // 000000002B60: 7ED80280
	v_mov_b32_e32 v109, 0                                      // 000000002B64: 7EDA0280
	v_mov_b32_e32 v110, 0                                      // 000000002B68: 7EDC0280
	v_mov_b32_e32 v111, 0                                      // 000000002B6C: 7EDE0280
	v_mov_b32_e32 v112, 0                                      // 000000002B70: 7EE00280
	v_mov_b32_e32 v113, 0                                      // 000000002B74: 7EE20280
	v_mov_b32_e32 v114, 0                                      // 000000002B78: 7EE40280
	v_mov_b32_e32 v115, 0                                      // 000000002B7C: 7EE60280
	v_mov_b32_e32 v116, 0                                      // 000000002B80: 7EE80280
	v_mov_b32_e32 v117, 0                                      // 000000002B84: 7EEA0280
	v_mov_b32_e32 v118, 0                                      // 000000002B88: 7EEC0280
	v_mov_b32_e32 v119, 0                                      // 000000002B8C: 7EEE0280
	v_mov_b32_e32 v120, 0                                      // 000000002B90: 7EF00280
	v_mov_b32_e32 v121, 0                                      // 000000002B94: 7EF20280
	v_mov_b32_e32 v122, 0                                      // 000000002B98: 7EF40280
	v_mov_b32_e32 v123, 0                                      // 000000002B9C: 7EF60280
	v_mov_b32_e32 v124, 0                                      // 000000002BA0: 7EF80280
	v_mov_b32_e32 v125, 0                                      // 000000002BA4: 7EFA0280
	v_mov_b32_e32 v126, 0                                      // 000000002BA8: 7EFC0280
	v_mov_b32_e32 v127, 0                                      // 000000002BAC: 7EFE0280
	v_mov_b32_e32 v128, 0                                      // 000000002BB0: 7F000280
	v_mov_b32_e32 v129, 0                                      // 000000002BB4: 7F020280
	v_mov_b32_e32 v130, 0                                      // 000000002BB8: 7F040280
	v_mov_b32_e32 v131, 0                                      // 000000002BBC: 7F060280
	v_mov_b32_e32 v132, 0                                      // 000000002BC0: 7F080280
	v_mov_b32_e32 v133, 0                                      // 000000002BC4: 7F0A0280
	v_mov_b32_e32 v134, 0                                      // 000000002BC8: 7F0C0280
	v_mov_b32_e32 v135, 0                                      // 000000002BCC: 7F0E0280
	v_mov_b32_e32 v136, 0                                      // 000000002BD0: 7F100280
	v_mov_b32_e32 v137, 0                                      // 000000002BD4: 7F120280
	v_mov_b32_e32 v138, 0                                      // 000000002BD8: 7F140280
	v_mov_b32_e32 v139, 0                                      // 000000002BDC: 7F160280
	v_mov_b32_e32 v140, 0                                      // 000000002BE0: 7F180280
	v_mov_b32_e32 v141, 0                                      // 000000002BE4: 7F1A0280
	v_mov_b32_e32 v142, 0                                      // 000000002BE8: 7F1C0280
	v_mov_b32_e32 v143, 0                                      // 000000002BEC: 7F1E0280
	v_mov_b32_e32 v144, 0                                      // 000000002BF0: 7F200280
	v_mov_b32_e32 v145, 0                                      // 000000002BF4: 7F220280
	v_mov_b32_e32 v146, 0                                      // 000000002BF8: 7F240280
	v_mov_b32_e32 v147, 0                                      // 000000002BFC: 7F260280
	v_mov_b32_e32 v148, 0                                      // 000000002C00: 7F280280
	v_mov_b32_e32 v149, 0                                      // 000000002C04: 7F2A0280
	v_mov_b32_e32 v150, 0                                      // 000000002C08: 7F2C0280
	v_mov_b32_e32 v151, 0                                      // 000000002C0C: 7F2E0280
	v_mov_b32_e32 v152, 0                                      // 000000002C10: 7F300280
	v_mov_b32_e32 v153, 0                                      // 000000002C14: 7F320280
	v_mov_b32_e32 v154, 0                                      // 000000002C18: 7F340280
	v_mov_b32_e32 v155, 0                                      // 000000002C1C: 7F360280
	v_mov_b32_e32 v156, 0                                      // 000000002C20: 7F380280
	v_mov_b32_e32 v157, 0                                      // 000000002C24: 7F3A0280
	v_mov_b32_e32 v158, 0                                      // 000000002C28: 7F3C0280
	v_mov_b32_e32 v159, 0                                      // 000000002C2C: 7F3E0280
	v_mov_b32_e32 v160, 0                                      // 000000002C30: 7F400280
	v_mov_b32_e32 v161, 0                                      // 000000002C34: 7F420280
	v_mov_b32_e32 v162, 0                                      // 000000002C38: 7F440280
	v_mov_b32_e32 v163, 0                                      // 000000002C3C: 7F460280
	v_mov_b32_e32 v164, 0                                      // 000000002C40: 7F480280
	v_mov_b32_e32 v165, 0                                      // 000000002C44: 7F4A0280
	v_mov_b32_e32 v166, 0                                      // 000000002C48: 7F4C0280
	v_mov_b32_e32 v167, 0                                      // 000000002C4C: 7F4E0280
	v_mov_b32_e32 v168, 0                                      // 000000002C50: 7F500280
	v_mov_b32_e32 v169, 0                                      // 000000002C54: 7F520280
	v_mov_b32_e32 v170, 0                                      // 000000002C58: 7F540280
	v_mov_b32_e32 v171, 0                                      // 000000002C5C: 7F560280
	v_mov_b32_e32 v172, 0                                      // 000000002C60: 7F580280
	v_mov_b32_e32 v173, 0                                      // 000000002C64: 7F5A0280
	v_mov_b32_e32 v174, 0                                      // 000000002C68: 7F5C0280
	v_mov_b32_e32 v175, 0                                      // 000000002C6C: 7F5E0280
	v_mov_b32_e32 v176, 0                                      // 000000002C70: 7F600280
	v_mov_b32_e32 v177, 0                                      // 000000002C74: 7F620280
	v_mov_b32_e32 v178, 0                                      // 000000002C78: 7F640280
	v_mov_b32_e32 v179, 0                                      // 000000002C7C: 7F660280
	v_mov_b32_e32 v180, 0                                      // 000000002C80: 7F680280
	v_mov_b32_e32 v181, 0                                      // 000000002C84: 7F6A0280
	v_mov_b32_e32 v182, 0                                      // 000000002C88: 7F6C0280
	v_mov_b32_e32 v183, 0                                      // 000000002C8C: 7F6E0280
	v_mov_b32_e32 v184, 0                                      // 000000002C90: 7F700280
	v_mov_b32_e32 v185, 0                                      // 000000002C94: 7F720280
	v_mov_b32_e32 v186, 0                                      // 000000002C98: 7F740280
	v_mov_b32_e32 v187, 0                                      // 000000002C9C: 7F760280
	v_mov_b32_e32 v188, 0                                      // 000000002CA0: 7F780280
	v_mov_b32_e32 v189, 0                                      // 000000002CA4: 7F7A0280
	v_mov_b32_e32 v190, 0                                      // 000000002CA8: 7F7C0280
	v_mov_b32_e32 v191, 0                                      // 000000002CAC: 7F7E0280
	v_mov_b32_e32 v192, 0                                      // 000000002CB0: 7F800280
	v_mov_b32_e32 v193, 0                                      // 000000002CB4: 7F820280
	v_mov_b32_e32 v194, 0                                      // 000000002CB8: 7F840280
	v_mov_b32_e32 v195, 0                                      // 000000002CBC: 7F860280
	v_mov_b32_e32 v196, 0                                      // 000000002CC0: 7F880280
	v_mov_b32_e32 v197, 0                                      // 000000002CC4: 7F8A0280
	v_mov_b32_e32 v198, 0                                      // 000000002CC8: 7F8C0280
	v_mov_b32_e32 v199, 0                                      // 000000002CCC: 7F8E0280
	v_mov_b32_e32 v200, 0                                      // 000000002CD0: 7F900280
	v_mov_b32_e32 v201, 0                                      // 000000002CD4: 7F920280
	v_mov_b32_e32 v202, 0                                      // 000000002CD8: 7F940280
	v_mov_b32_e32 v203, 0                                      // 000000002CDC: 7F960280
	s_waitcnt lgkmcnt(0)                                       // 000000002CE0: BF8CC07F
	v_mul_u32_u24_e64 v217, v30, s68                           // 000000002CE4: D10800D9 0000891E
	v_add_u32_e32 v217, v217, v1                               // 000000002CEC: 69B203D9
	s_mov_b32 s56, 0xb000                                      // 000000002CF0: BEB800FF 0000B000
	s_mul_i32 s57, s7, 0x2400                                  // 000000002CF8: 9239FF07 00002400
	s_add_u32 m0, s56, s57                                     // 000000002D00: 807C3938
	buffer_load_dwordx4 v217, s[20:23], 0 offen lds            // 000000002D04: E05D1000 800500D9
	s_add_i32 m0, m0, 0x3c0                                    // 000000002D0C: 817CFF7C 000003C0
	buffer_load_dwordx4 v217, s[20:23], 0 offen offset:64 lds  // 000000002D14: E05D1040 800500D9
	s_add_i32 m0, m0, 0x3c0                                    // 000000002D1C: 817CFF7C 000003C0
	buffer_load_dwordx4 v217, s[20:23], 0 offen offset:128 lds // 000000002D24: E05D1080 800500D9
	s_add_i32 m0, m0, 0x3c0                                    // 000000002D2C: 817CFF7C 000003C0
	buffer_load_dwordx4 v217, s[20:23], 0 offen offset:192 lds // 000000002D34: E05D10C0 800500D9
	s_add_i32 m0, m0, 0x3c0                                    // 000000002D3C: 817CFF7C 000003C0
	buffer_load_dwordx4 v217, s[20:23], 0 offen offset:256 lds // 000000002D44: E05D1100 800500D9
	s_add_i32 m0, m0, 0x3c0                                    // 000000002D4C: 817CFF7C 000003C0
	buffer_load_dwordx4 v217, s[20:23], 0 offen offset:320 lds // 000000002D54: E05D1140 800500D9
	s_add_i32 m0, m0, 0x3c0                                    // 000000002D5C: 817CFF7C 000003C0
	buffer_load_dwordx4 v217, s[20:23], 0 offen offset:384 lds // 000000002D64: E05D1180 800500D9
	s_add_i32 m0, m0, 0x3c0                                    // 000000002D6C: 817CFF7C 000003C0
	buffer_load_dwordx4 v217, s[20:23], 0 offen offset:448 lds // 000000002D74: E05D11C0 800500D9
	s_add_i32 m0, m0, 0x3c0                                    // 000000002D7C: 817CFF7C 000003C0
	buffer_load_dwordx4 v217, s[20:23], 0 offen offset:512 lds // 000000002D84: E05D1200 800500D9
	s_add_i32 m0, m0, 0x3c0                                    // 000000002D8C: 817CFF7C 000003C0
	buffer_load_dword v32, v34, s[24:27], 0 offen              // 000000002D94: E0501000 80062022
	v_add_u32_e32 v34, s73, v34                                // 000000002D9C: 68444449
	v_and_b32_e32 v35, 15, v0                                  // 000000002DA0: 2646008F
	v_lshlrev_b32_e32 v35, 4, v35                              // 000000002DA4: 24464684
	v_and_b32_e32 v36, 31, v0                                  // 000000002DA8: 2648009F
	v_lshrrev_b32_e32 v36, 4, v36                              // 000000002DAC: 20484884
	s_mov_b32 s56, 0x900                                       // 000000002DB0: BEB800FF 00000900
	v_mul_i32_i24_e32 v36, s56, v36                            // 000000002DB8: 0C484838
	v_add_u32_e32 v22, v35, v36                                // 000000002DBC: 682C4923
	v_mov_b32_e32 v23, v22                                     // 000000002DC0: 7E2E0316
	v_and_b32_e32 v35, 15, v0                                  // 000000002DC4: 2646008F
	v_lshrrev_b32_e32 v35, 3, v35                              // 000000002DC8: 20464683
	v_lshlrev_b32_e32 v35, 3, v35                              // 000000002DCC: 24464683
	v_lshrrev_b32_e32 v36, 5, v0                               // 000000002DD0: 20480085
	v_lshlrev_b32_e32 v36, 2, v36                              // 000000002DD4: 24484882
	v_add_u32_e32 v22, v22, v35                                // 000000002DD8: 682C4716
	v_add_u32_e32 v22, v22, v36                                // 000000002DDC: 682C4916
	v_and_b32_e32 v35, 15, v0                                  // 000000002DE0: 2646008F
	v_lshrrev_b32_e32 v35, 3, v35                              // 000000002DE4: 20464683
	s_mov_b32 s56, 1                                           // 000000002DE8: BEB80081
	v_mov_b32_e32 v36, s56                                     // 000000002DEC: 7E480238
	v_xor_b32_e32 v35, v36, v35                                // 000000002DF0: 2A464724
	v_lshlrev_b32_e32 v35, 3, v35                              // 000000002DF4: 24464683
	v_lshrrev_b32_e32 v36, 5, v0                               // 000000002DF8: 20480085
	v_lshlrev_b32_e32 v36, 2, v36                              // 000000002DFC: 24484882
	v_add_u32_e32 v23, v23, v35                                // 000000002E00: 682E4717
	v_add_u32_e32 v23, v23, v36                                // 000000002E04: 682E4917
	s_mov_b32 s56, 0                                           // 000000002E08: BEB80080
	v_lshlrev_b32_e32 v22, 2, v22                              // 000000002E0C: 242C2C82
	v_lshlrev_b32_e32 v23, 2, v23                              // 000000002E10: 242E2E82
	s_and_b32 s56, s7, 1                                       // 000000002E14: 86388107
	s_mov_b32 s57, 0x4800                                      // 000000002E18: BEB900FF 00004800
	s_mul_i32 s56, s57, s56                                    // 000000002E20: 92383839
	v_add_u32_e32 v22, s56, v22                                // 000000002E24: 682C2C38
	v_add_u32_e32 v23, s56, v23                                // 000000002E28: 682E2E38
	s_mov_b32 s56, 0x2000                                      // 000000002E2C: BEB800FF 00002000
	v_add_u32_e32 v22, s56, v22                                // 000000002E34: 682C2C38
	v_add_u32_e32 v23, s56, v23                                // 000000002E38: 682E2E38
	s_mov_b32 s57, 0x9000                                      // 000000002E3C: BEB900FF 00009000
	v_add_u32_e32 v24, s57, v22                                // 000000002E44: 68302C39
	v_add_u32_e32 v25, s57, v23                                // 000000002E48: 68322E39
	v_add_u32_e32 v26, s57, v24                                // 000000002E4C: 68343039
	v_add_u32_e32 v27, s57, v25                                // 000000002E50: 68363239
	v_add_u32_e32 v28, s57, v26                                // 000000002E54: 68383439
	v_add_u32_e32 v29, s57, v27                                // 000000002E58: 683A3639
	v_and_b32_e32 v35, 15, v0                                  // 000000002E5C: 2646008F
	v_lshrrev_b32_e32 v35, 1, v35                              // 000000002E60: 20464681
	v_lshlrev_b32_e32 v35, 4, v35                              // 000000002E64: 24464684
	v_and_b32_e32 v36, 1, v0                                   // 000000002E68: 26480081
	v_lshlrev_b32_e32 v36, 1, v36                              // 000000002E6C: 24484881
	v_and_b32_e32 v37, 31, v0                                  // 000000002E70: 264A009F
	v_lshrrev_b32_e32 v37, 4, v37                              // 000000002E74: 204A4A84
	v_lshlrev_b32_e32 v37, 2, v37                              // 000000002E78: 244A4A82
	v_lshrrev_b32_e32 v38, 5, v0                               // 000000002E7C: 204C0085
	s_mov_b32 s56, 0x900                                       // 000000002E80: BEB800FF 00000900
	v_mul_i32_i24_e32 v38, s56, v38                            // 000000002E88: 0C4C4C38
	v_add_u32_e32 v5, v35, v36                                 // 000000002E8C: 680A4923
	v_add_u32_e32 v5, v37, v5                                  // 000000002E90: 680A0B25
	v_add_u32_e32 v5, v38, v5                                  // 000000002E94: 680A0B26
	s_mov_b32 s56, 0x88                                        // 000000002E98: BEB800FF 00000088
	v_add_u32_e32 v6, s56, v5                                  // 000000002EA0: 680C0A38
	s_mov_b32 s56, 8                                           // 000000002EA4: BEB80088
	v_add_u32_e32 v7, s56, v5                                  // 000000002EA8: 680E0A38
	s_mov_b32 s56, 0x80                                        // 000000002EAC: BEB800FF 00000080
	v_add_u32_e32 v8, s56, v5                                  // 000000002EB4: 68100A38
	v_lshlrev_b32_e32 v5, 2, v5                                // 000000002EB8: 240A0A82
	v_lshlrev_b32_e32 v6, 2, v6                                // 000000002EBC: 240C0C82
	v_lshlrev_b32_e32 v7, 2, v7                                // 000000002EC0: 240E0E82
	v_lshlrev_b32_e32 v8, 2, v8                                // 000000002EC4: 24101082
	s_and_b32 s56, s7, 1                                       // 000000002EC8: 86388107
	s_mov_b32 s57, 0x1000                                      // 000000002ECC: BEB900FF 00001000
	s_mul_i32 s56, s56, s57                                    // 000000002ED4: 92383938
	v_add_u32_e32 v5, s56, v5                                  // 000000002ED8: 680A0A38
	v_add_u32_e32 v6, s56, v6                                  // 000000002EDC: 680C0C38
	v_add_u32_e32 v7, s56, v7                                  // 000000002EE0: 680E0E38
	v_add_u32_e32 v8, s56, v8                                  // 000000002EE4: 68101038
	s_mov_b32 s56, 0x2000                                      // 000000002EE8: BEB800FF 00002000
	v_add_u32_e32 v5, s56, v5                                  // 000000002EF0: 680A0A38
	v_add_u32_e32 v6, s56, v6                                  // 000000002EF4: 680C0C38
	v_add_u32_e32 v7, s56, v7                                  // 000000002EF8: 680E0E38
	v_add_u32_e32 v8, s56, v8                                  // 000000002EFC: 68101038
	s_mov_b32 s56, 0x9000                                      // 000000002F00: BEB800FF 00009000
	v_add_u32_e32 v9, s56, v5                                  // 000000002F08: 68120A38
	v_add_u32_e32 v10, s56, v6                                 // 000000002F0C: 68140C38
	v_add_u32_e32 v11, s56, v7                                 // 000000002F10: 68160E38
	v_add_u32_e32 v12, s56, v8                                 // 000000002F14: 68181038
	v_add_u32_e32 v13, s56, v9                                 // 000000002F18: 681A1238
	v_add_u32_e32 v14, s56, v10                                // 000000002F1C: 681C1438
	v_add_u32_e32 v15, s56, v11                                // 000000002F20: 681E1638
	v_add_u32_e32 v16, s56, v12                                // 000000002F24: 68201838
	v_add_u32_e32 v17, s56, v13                                // 000000002F28: 68221A38
	v_add_u32_e32 v18, s56, v14                                // 000000002F2C: 68241C38
	v_add_u32_e32 v19, s56, v15                                // 000000002F30: 68261E38
	v_add_u32_e32 v20, s56, v16                                // 000000002F34: 68282038
	v_mul_u32_u24_e64 v217, v31, s68                           // 000000002F38: D10800D9 0000891F
	v_add_u32_e32 v217, v217, v1                               // 000000002F40: 69B203D9
	s_mov_b32 s56, 0x14000                                     // 000000002F44: BEB800FF 00014000
	s_mul_i32 s57, s7, 0x2400                                  // 000000002F4C: 9239FF07 00002400
	s_add_u32 m0, s56, s57                                     // 000000002F54: 807C3938
	buffer_load_dwordx4 v217, s[20:23], 0 offen lds            // 000000002F58: E05D1000 800500D9
	s_add_i32 m0, m0, 0x3c0                                    // 000000002F60: 817CFF7C 000003C0
	buffer_load_dwordx4 v217, s[20:23], 0 offen offset:64 lds  // 000000002F68: E05D1040 800500D9
	s_add_i32 m0, m0, 0x3c0                                    // 000000002F70: 817CFF7C 000003C0
	buffer_load_dwordx4 v217, s[20:23], 0 offen offset:128 lds // 000000002F78: E05D1080 800500D9
	s_add_i32 m0, m0, 0x3c0                                    // 000000002F80: 817CFF7C 000003C0
	buffer_load_dwordx4 v217, s[20:23], 0 offen offset:192 lds // 000000002F88: E05D10C0 800500D9
	s_add_i32 m0, m0, 0x3c0                                    // 000000002F90: 817CFF7C 000003C0
	buffer_load_dwordx4 v217, s[20:23], 0 offen offset:256 lds // 000000002F98: E05D1100 800500D9
	s_add_i32 m0, m0, 0x3c0                                    // 000000002FA0: 817CFF7C 000003C0
	buffer_load_dwordx4 v217, s[20:23], 0 offen offset:320 lds // 000000002FA8: E05D1140 800500D9
	s_add_i32 m0, m0, 0x3c0                                    // 000000002FB0: 817CFF7C 000003C0
	buffer_load_dwordx4 v217, s[20:23], 0 offen offset:384 lds // 000000002FB8: E05D1180 800500D9
	s_add_i32 m0, m0, 0x3c0                                    // 000000002FC0: 817CFF7C 000003C0
	buffer_load_dwordx4 v217, s[20:23], 0 offen offset:448 lds // 000000002FC8: E05D11C0 800500D9
	s_add_i32 m0, m0, 0x3c0                                    // 000000002FD0: 817CFF7C 000003C0
	buffer_load_dwordx4 v217, s[20:23], 0 offen offset:512 lds // 000000002FD8: E05D1200 800500D9
	s_add_i32 m0, m0, 0x3c0                                    // 000000002FE0: 817CFF7C 000003C0
	buffer_load_dword v33, v34, s[24:27], 0 offen              // 000000002FE8: E0501000 80062122
	v_add_u32_e32 v34, s73, v34                                // 000000002FF0: 68444449
	s_waitcnt vmcnt(10)                                        // 000000002FF4: BF8C0F7A
	s_barrier                                                  // 000000002FF8: BF8A0000
	s_waitcnt lgkmcnt(0)                                       // 000000002FFC: BF8CC07F
	ds_read_b128 a[72:75], v24                                 // 000000003000: DBFE0000 48000018
	ds_read_b128 a[76:79], v25                                 // 000000003008: DBFE0000 4C000019
	ds_read_b128 a[80:83], v24 offset:1024                     // 000000003010: DBFE0400 50000018
	ds_read_b128 a[84:87], v25 offset:1024                     // 000000003018: DBFE0400 54000019
	ds_read_b128 a[88:91], v24 offset:2048                     // 000000003020: DBFE0800 58000018
	ds_read_b128 a[92:95], v25 offset:2048                     // 000000003028: DBFE0800 5C000019
	ds_read_b128 a[96:99], v24 offset:3072                     // 000000003030: DBFE0C00 60000018
	ds_read_b128 a[100:103], v25 offset:3072                   // 000000003038: DBFE0C00 64000019
	ds_read_b128 a[104:107], v24 offset:4096                   // 000000003040: DBFE1000 68000018
	ds_read_b128 a[108:111], v25 offset:4096                   // 000000003048: DBFE1000 6C000019
	ds_read_b128 a[112:115], v24 offset:5120                   // 000000003050: DBFE1400 70000018
	ds_read_b128 a[116:119], v25 offset:5120                   // 000000003058: DBFE1400 74000019
	ds_read_b128 a[120:123], v24 offset:6144                   // 000000003060: DBFE1800 78000018
	ds_read_b128 a[124:127], v25 offset:6144                   // 000000003068: DBFE1800 7C000019
	ds_read_b128 a[128:131], v24 offset:7168                   // 000000003070: DBFE1C00 80000018
	ds_read_b128 a[132:135], v25 offset:7168                   // 000000003078: DBFE1C00 84000019
	ds_read_b128 a[136:139], v24 offset:8192                   // 000000003080: DBFE2000 88000018
	ds_read_b128 a[140:143], v25 offset:8192                   // 000000003088: DBFE2000 8C000019
	s_cmp_lt_u32 s71, 1                                        // 000000003090: BF0A8147
	s_cselect_b32 s83, 64, 0                                   // 000000003094: 855380C0
	s_cbranch_scc1 label_75F8                                  // 000000003098: BF851A57
	s_waitcnt lgkmcnt(4)                                       // 00000000309C: BF8CC47F
	s_waitcnt vmcnt(0)                                         // 0000000030A0: BF8C0F70
	s_barrier                                                  // 0000000030A4: BF8A0000
	v_mfma_f32_32x32x64_f8f6f4 v[44:59], a[72:79], a[0:7], 0   // 0000000030A8: D3AE002C 1A020148
	v_mul_u32_u24_e64 v217, v32, s68                           // 0000000030B0: D10800D9 00008920
	v_add_u32_e32 v217, v217, v1                               // 0000000030B8: 69B203D9
	buffer_load_dword v30, v34, s[24:27], 0 offen              // 0000000030BC: E0501000 80061E22
	ds_read_b128 a[72:75], v26                                 // 0000000030C4: DBFE0000 4800001A
	ds_read_b128 a[76:79], v27                                 // 0000000030CC: DBFE0000 4C00001B
	v_mfma_f32_32x32x64_f8f6f4 v[44:59], a[80:87], a[8:15], v[44:59]// 0000000030D4: D3AE002C 1CB21150
	s_mov_b32 s56, 0x1d000                                     // 0000000030DC: BEB800FF 0001D000
	s_mul_i32 s57, s7, 0x2400                                  // 0000000030E4: 9239FF07 00002400
	s_add_u32 m0, s56, s57                                     // 0000000030EC: 807C3938
	buffer_load_dwordx4 v217, s[20:23], 0 offen lds            // 0000000030F0: E05D1000 800500D9
	s_add_i32 m0, m0, 0x3c0                                    // 0000000030F8: 817CFF7C 000003C0
	ds_read_b128 a[80:83], v26 offset:1024                     // 000000003100: DBFE0400 5000001A
	ds_read_b128 a[84:87], v27 offset:1024                     // 000000003108: DBFE0400 5400001B
	v_mfma_f32_32x32x64_f8f6f4 v[44:59], a[88:95], a[16:23], v[44:59]// 000000003110: D3AE002C 1CB22158
	ds_read_b128 a[88:91], v26 offset:2048                     // 000000003118: DBFE0800 5800001A
	ds_read_b128 a[92:95], v27 offset:2048                     // 000000003120: DBFE0800 5C00001B
	v_mfma_f32_32x32x64_f8f6f4 v[44:59], a[96:103], a[24:31], v[44:59]// 000000003128: D3AE002C 1CB23160
	buffer_load_dwordx4 v217, s[20:23], 0 offen offset:64 lds  // 000000003130: E05D1040 800500D9
	s_add_i32 m0, m0, 0x3c0                                    // 000000003138: 817CFF7C 000003C0
	ds_read_b128 a[96:99], v26 offset:3072                     // 000000003140: DBFE0C00 6000001A
	ds_read_b128 a[100:103], v27 offset:3072                   // 000000003148: DBFE0C00 6400001B
	v_mfma_f32_32x32x64_f8f6f4 v[44:59], a[104:111], a[32:39], v[44:59]// 000000003150: D3AE002C 1CB24168
	ds_read_b128 a[104:107], v26 offset:4096                   // 000000003158: DBFE1000 6800001A
	ds_read_b128 a[108:111], v27 offset:4096                   // 000000003160: DBFE1000 6C00001B
	v_mfma_f32_32x32x64_f8f6f4 v[44:59], a[112:119], a[40:47], v[44:59]// 000000003168: D3AE002C 1CB25170
	buffer_load_dwordx4 v217, s[20:23], 0 offen offset:128 lds // 000000003170: E05D1080 800500D9
	s_add_i32 m0, m0, 0x3c0                                    // 000000003178: 817CFF7C 000003C0
	ds_read_b128 a[112:115], v26 offset:5120                   // 000000003180: DBFE1400 7000001A
	ds_read_b128 a[116:119], v27 offset:5120                   // 000000003188: DBFE1400 7400001B
	v_mfma_f32_32x32x64_f8f6f4 v[44:59], a[120:127], a[48:55], v[44:59]// 000000003190: D3AE002C 1CB26178
	ds_read_b128 a[120:123], v26 offset:6144                   // 000000003198: DBFE1800 7800001A
	ds_read_b128 a[124:127], v27 offset:6144                   // 0000000031A0: DBFE1800 7C00001B
	v_mfma_f32_32x32x64_f8f6f4 v[44:59], a[128:135], a[56:63], v[44:59]// 0000000031A8: D3AE002C 1CB27180
	buffer_load_dwordx4 v217, s[20:23], 0 offen offset:192 lds // 0000000031B0: E05D10C0 800500D9
	s_add_i32 m0, m0, 0x3c0                                    // 0000000031B8: 817CFF7C 000003C0
	ds_read_b128 a[128:131], v26 offset:7168                   // 0000000031C0: DBFE1C00 8000001A
	ds_read_b128 a[132:135], v27 offset:7168                   // 0000000031C8: DBFE1C00 8400001B
	v_mfma_f32_32x32x64_f8f6f4 v[44:59], a[136:143], a[64:71], v[44:59]// 0000000031D0: D3AE002C 1CB28188
	ds_read_b128 a[136:139], v26 offset:8192                   // 0000000031D8: DBFE2000 8800001A
	ds_read_b128 a[140:143], v27 offset:8192                   // 0000000031E0: DBFE2000 8C00001B
	buffer_load_dwordx4 v217, s[20:23], 0 offen offset:256 lds // 0000000031E8: E05D1100 800500D9
	s_add_i32 m0, m0, 0x3c0                                    // 0000000031F0: 817CFF7C 000003C0
	buffer_load_dwordx4 v217, s[20:23], 0 offen offset:320 lds // 0000000031F8: E05D1140 800500D9
	s_add_i32 m0, m0, 0x3c0                                    // 000000003200: 817CFF7C 000003C0
	buffer_load_dwordx4 v217, s[20:23], 0 offen offset:384 lds // 000000003208: E05D1180 800500D9
	s_add_i32 m0, m0, 0x3c0                                    // 000000003210: 817CFF7C 000003C0
	buffer_load_dwordx4 v217, s[20:23], 0 offen offset:448 lds // 000000003218: E05D11C0 800500D9
	s_add_i32 m0, m0, 0x3c0                                    // 000000003220: 817CFF7C 000003C0
	buffer_load_dwordx4 v217, s[20:23], 0 offen offset:512 lds // 000000003228: E05D1200 800500D9
	s_add_i32 m0, m0, 0x3c0                                    // 000000003230: 817CFF7C 000003C0
	v_add_u32_e32 v34, s73, v34                                // 000000003238: 68444449
	s_mov_b32 s83, 64                                          // 00000000323C: BED300C0
	s_cmp_le_i32 s83, s82                                      // 000000003240: BF055253
	s_cbranch_scc1 label_102C                                  // 000000003244: BF850079
	s_mov_b32 s36, 0xffff0000                                  // 000000003248: BEA400FF FFFF0000
	s_mov_b32 s37, 0xffff0000                                  // 000000003250: BEA500FF FFFF0000
	v_mov_b32_e32 v36, s82                                     // 000000003258: 7E480252
	s_add_i32 s56, s82, 1                                      // 00000000325C: 81388152
	v_mov_b32_e32 v37, s56                                     // 000000003260: 7E4A0238
	v_cndmask_b32_e64 v35, v36, v37, s[36:37]                  // 000000003264: D1000023 00924B24
	s_and_b32 s56, 2, s7                                       // 00000000326C: 86380782
	v_add_i32 v35, s56, v35                                    // 000000003270: D29C0023 00024638
	s_sub_u32 s56, s83, 64                                     // 000000003278: 80B8C053
	v_lshrrev_b32_e32 v204, 5, v0                              // 00000000327C: 21980085
	v_mul_i32_i24_e32 v204, 4, v204                            // 000000003280: 0D999884
	v_add_u32_e32 v204, s56, v204                              // 000000003284: 69999838
	s_and_b32 s56, s7, 1                                       // 000000003288: 86388107
	s_mov_b32 s57, 32                                          // 00000000328C: BEB900A0
	s_mul_i32 s56, s57, s56                                    // 000000003290: 92383839
	v_add_u32_e32 v204, s56, v204                              // 000000003294: 69999838
	v_add_u32_e32 v205, 1, v204                                // 000000003298: 699B9881
	v_add_u32_e32 v206, 2, v204                                // 00000000329C: 699D9882
	v_add_u32_e32 v207, 3, v204                                // 0000000032A0: 699F9883
	v_mov_b32_e32 v37, 0xff800000                              // 0000000032A4: 7E4A02FF FF800000
	v_cmp_le_i32_e64 s[36:37], v204, v35                       // 0000000032AC: D0C30024 000247CC
	s_nop 0                                                    // 0000000032B4: BF800000
	v_cndmask_b32_e64 v44, v37, v44, s[36:37]                  // 0000000032B8: D100002C 00925925
	v_add_u32_e32 v204, 8, v204                                // 0000000032C0: 69999888
	v_cmp_le_i32_e64 s[36:37], v205, v35                       // 0000000032C4: D0C30024 000247CD
	s_nop 0                                                    // 0000000032CC: BF800000
	v_cndmask_b32_e64 v45, v37, v45, s[36:37]                  // 0000000032D0: D100002D 00925B25
	v_add_u32_e32 v205, 8, v205                                // 0000000032D8: 699B9A88
	v_cmp_le_i32_e64 s[36:37], v206, v35                       // 0000000032DC: D0C30024 000247CE
	s_nop 0                                                    // 0000000032E4: BF800000
	v_cndmask_b32_e64 v46, v37, v46, s[36:37]                  // 0000000032E8: D100002E 00925D25
	v_add_u32_e32 v206, 8, v206                                // 0000000032F0: 699D9C88
	v_cmp_le_i32_e64 s[36:37], v207, v35                       // 0000000032F4: D0C30024 000247CF
	s_nop 0                                                    // 0000000032FC: BF800000
	v_cndmask_b32_e64 v47, v37, v47, s[36:37]                  // 000000003300: D100002F 00925F25
	v_add_u32_e32 v207, 8, v207                                // 000000003308: 699F9E88
	v_cmp_le_i32_e64 s[36:37], v204, v35                       // 00000000330C: D0C30024 000247CC
	s_nop 0                                                    // 000000003314: BF800000
	v_cndmask_b32_e64 v48, v37, v48, s[36:37]                  // 000000003318: D1000030 00926125
	v_add_u32_e32 v204, 8, v204                                // 000000003320: 69999888
	v_cmp_le_i32_e64 s[36:37], v205, v35                       // 000000003324: D0C30024 000247CD
	s_nop 0                                                    // 00000000332C: BF800000
	v_cndmask_b32_e64 v49, v37, v49, s[36:37]                  // 000000003330: D1000031 00926325
	v_add_u32_e32 v205, 8, v205                                // 000000003338: 699B9A88
	v_cmp_le_i32_e64 s[36:37], v206, v35                       // 00000000333C: D0C30024 000247CE
	s_nop 0                                                    // 000000003344: BF800000
	v_cndmask_b32_e64 v50, v37, v50, s[36:37]                  // 000000003348: D1000032 00926525
	v_add_u32_e32 v206, 8, v206                                // 000000003350: 699D9C88
	v_cmp_le_i32_e64 s[36:37], v207, v35                       // 000000003354: D0C30024 000247CF
	s_nop 0                                                    // 00000000335C: BF800000
	v_cndmask_b32_e64 v51, v37, v51, s[36:37]                  // 000000003360: D1000033 00926725
	v_add_u32_e32 v207, 8, v207                                // 000000003368: 699F9E88
	v_cmp_le_i32_e64 s[36:37], v204, v35                       // 00000000336C: D0C30024 000247CC
	s_nop 0                                                    // 000000003374: BF800000
	v_cndmask_b32_e64 v52, v37, v52, s[36:37]                  // 000000003378: D1000034 00926925
	v_add_u32_e32 v204, 8, v204                                // 000000003380: 69999888
	v_cmp_le_i32_e64 s[36:37], v205, v35                       // 000000003384: D0C30024 000247CD
	s_nop 0                                                    // 00000000338C: BF800000
	v_cndmask_b32_e64 v53, v37, v53, s[36:37]                  // 000000003390: D1000035 00926B25
	v_add_u32_e32 v205, 8, v205                                // 000000003398: 699B9A88
	v_cmp_le_i32_e64 s[36:37], v206, v35                       // 00000000339C: D0C30024 000247CE
	s_nop 0                                                    // 0000000033A4: BF800000
	v_cndmask_b32_e64 v54, v37, v54, s[36:37]                  // 0000000033A8: D1000036 00926D25
	v_add_u32_e32 v206, 8, v206                                // 0000000033B0: 699D9C88
	v_cmp_le_i32_e64 s[36:37], v207, v35                       // 0000000033B4: D0C30024 000247CF
	s_nop 0                                                    // 0000000033BC: BF800000
	v_cndmask_b32_e64 v55, v37, v55, s[36:37]                  // 0000000033C0: D1000037 00926F25
	v_add_u32_e32 v207, 8, v207                                // 0000000033C8: 699F9E88
	v_cmp_le_i32_e64 s[36:37], v204, v35                       // 0000000033CC: D0C30024 000247CC
	s_nop 0                                                    // 0000000033D4: BF800000
	v_cndmask_b32_e64 v56, v37, v56, s[36:37]                  // 0000000033D8: D1000038 00927125
	v_add_u32_e32 v204, 8, v204                                // 0000000033E0: 69999888
	v_cmp_le_i32_e64 s[36:37], v205, v35                       // 0000000033E4: D0C30024 000247CD
	s_nop 0                                                    // 0000000033EC: BF800000
	v_cndmask_b32_e64 v57, v37, v57, s[36:37]                  // 0000000033F0: D1000039 00927325
	v_add_u32_e32 v205, 8, v205                                // 0000000033F8: 699B9A88
	v_cmp_le_i32_e64 s[36:37], v206, v35                       // 0000000033FC: D0C30024 000247CE
	s_nop 0                                                    // 000000003404: BF800000
	v_cndmask_b32_e64 v58, v37, v58, s[36:37]                  // 000000003408: D100003A 00927525
	v_add_u32_e32 v206, 8, v206                                // 000000003410: 699D9C88
	v_cmp_le_i32_e64 s[36:37], v207, v35                       // 000000003414: D0C30024 000247CF
	s_nop 0                                                    // 00000000341C: BF800000
	v_cndmask_b32_e64 v59, v37, v59, s[36:37]                  // 000000003420: D100003B 00927725
	v_add_u32_e32 v207, 8, v207                                // 000000003428: 699F9E88

000000000000342c <label_102C>:
	s_add_u32 s83, s84, s83                                    // 00000000342C: 80535354
	s_nop 2                                                    // 000000003430: BF800002
	v_mov_b32_e32 v213, v44                                    // 000000003434: 7FAA032C
	v_max3_f32 v213, v44, v45, v213                            // 000000003438: D1D300D5 07565B2C
	v_max3_f32 v213, v46, v47, v213                            // 000000003440: D1D300D5 07565F2E
	v_max3_f32 v213, v48, v49, v213                            // 000000003448: D1D300D5 07566330
	v_max3_f32 v213, v50, v51, v213                            // 000000003450: D1D300D5 07566732
	v_max3_f32 v213, v52, v53, v213                            // 000000003458: D1D300D5 07566B34
	v_max3_f32 v213, v54, v55, v213                            // 000000003460: D1D300D5 07566F36
	v_max3_f32 v213, v56, v57, v213                            // 000000003468: D1D300D5 07567338
	v_max3_f32 v213, v58, v59, v213                            // 000000003470: D1D300D5 0756773A
	v_mov_b32_e32 v35, v213                                    // 000000003478: 7E4603D5
	v_mov_b32_e32 v36, v213                                    // 00000000347C: 7E4803D5
	s_nop 1                                                    // 000000003480: BF800001
	v_permlane32_swap_b32_e32 v35, v36                         // 000000003484: 7E46B524
	v_max3_f32 v213, v35, v36, v213                            // 000000003488: D1D300D5 07564923
	ds_write_b32 v41, v213                                     // 000000003490: D81A0000 0000D529
	s_waitcnt lgkmcnt(0)                                       // 000000003498: BF8CC07F
	s_barrier                                                  // 00000000349C: BF8A0000
	ds_read_b32 v35, v40                                       // 0000000034A0: D86C0000 23000028
	ds_read_b32 v36, v40 offset:256                            // 0000000034A8: D86C0100 24000028
	s_waitcnt lgkmcnt(0)                                       // 0000000034B0: BF8CC07F
	v_max3_f32 v213, v35, v36, v213                            // 0000000034B4: D1D300D5 07564923
	v_mov_b32_e32 v35, 0xff800000                              // 0000000034BC: 7E4602FF FF800000
	v_cmp_eq_u32_e64 s[36:37], v35, v2                         // 0000000034C4: D0CA0024 00020523
	v_max_f32_e32 v216, v213, v2                               // 0000000034CC: 17B005D5
	v_sub_f32_e32 v21, v2, v216                                // 0000000034D0: 042BB102
	v_cndmask_b32_e64 v21, v21, 0, s[36:37]                    // 0000000034D4: D1000015 00910115
	v_mov_b32_e32 v2, v216                                     // 0000000034DC: 7E0403D8
	v_mul_f32_e32 v212, s5, v216                               // 0000000034E0: 0BA9B005
	v_mul_f32_e32 v21, s5, v21                                 // 0000000034E4: 0A2A2A05
	v_exp_f32_e32 v21, v21                                     // 0000000034E8: 7E2A4115
	v_fma_f32 v44, v44, s5, -v212                              // 0000000034EC: D1CB002C 87500B2C
	v_fma_f32 v45, v45, s5, -v212                              // 0000000034F4: D1CB002D 87500B2D
	v_fma_f32 v46, v46, s5, -v212                              // 0000000034FC: D1CB002E 87500B2E
	v_fma_f32 v47, v47, s5, -v212                              // 000000003504: D1CB002F 87500B2F
	v_fma_f32 v48, v48, s5, -v212                              // 00000000350C: D1CB0030 87500B30
	v_fma_f32 v49, v49, s5, -v212                              // 000000003514: D1CB0031 87500B31
	v_fma_f32 v50, v50, s5, -v212                              // 00000000351C: D1CB0032 87500B32
	v_fma_f32 v51, v51, s5, -v212                              // 000000003524: D1CB0033 87500B33
	v_fma_f32 v52, v52, s5, -v212                              // 00000000352C: D1CB0034 87500B34
	v_fma_f32 v53, v53, s5, -v212                              // 000000003534: D1CB0035 87500B35
	v_fma_f32 v54, v54, s5, -v212                              // 00000000353C: D1CB0036 87500B36
	v_fma_f32 v55, v55, s5, -v212                              // 000000003544: D1CB0037 87500B37
	v_fma_f32 v56, v56, s5, -v212                              // 00000000354C: D1CB0038 87500B38
	v_fma_f32 v57, v57, s5, -v212                              // 000000003554: D1CB0039 87500B39
	v_fma_f32 v58, v58, s5, -v212                              // 00000000355C: D1CB003A 87500B3A
	v_fma_f32 v59, v59, s5, -v212                              // 000000003564: D1CB003B 87500B3B
	v_mov_b32_e32 v35, 0xffc00000                              // 00000000356C: 7E4602FF FFC00000
	v_exp_f32_e32 v44, v44                                     // 000000003574: 7E58412C
	v_exp_f32_e32 v45, v45                                     // 000000003578: 7E5A412D
	v_exp_f32_e32 v46, v46                                     // 00000000357C: 7E5C412E
	v_exp_f32_e32 v47, v47                                     // 000000003580: 7E5E412F
	v_exp_f32_e32 v48, v48                                     // 000000003584: 7E604130
	v_exp_f32_e32 v49, v49                                     // 000000003588: 7E624131
	v_exp_f32_e32 v50, v50                                     // 00000000358C: 7E644132
	v_exp_f32_e32 v51, v51                                     // 000000003590: 7E664133
	v_exp_f32_e32 v52, v52                                     // 000000003594: 7E684134
	v_exp_f32_e32 v53, v53                                     // 000000003598: 7E6A4135
	v_exp_f32_e32 v54, v54                                     // 00000000359C: 7E6C4136
	v_exp_f32_e32 v55, v55                                     // 0000000035A0: 7E6E4137
	v_exp_f32_e32 v56, v56                                     // 0000000035A4: 7E704138
	v_exp_f32_e32 v57, v57                                     // 0000000035A8: 7E724139
	v_exp_f32_e32 v58, v58                                     // 0000000035AC: 7E74413A
	v_exp_f32_e32 v59, v59                                     // 0000000035B0: 7E76413B
	v_mul_f32_e32 v4, v21, v4                                  // 0000000035B4: 0A080915
	v_mov_b32_e32 v35, v44                                     // 0000000035B8: 7E46032C
	v_add_f32_e32 v35, v45, v35                                // 0000000035BC: 0246472D
	v_add_f32_e32 v35, v46, v35                                // 0000000035C0: 0246472E
	v_add_f32_e32 v35, v47, v35                                // 0000000035C4: 0246472F
	v_add_f32_e32 v35, v48, v35                                // 0000000035C8: 02464730
	v_add_f32_e32 v35, v49, v35                                // 0000000035CC: 02464731
	v_add_f32_e32 v35, v50, v35                                // 0000000035D0: 02464732
	v_add_f32_e32 v35, v51, v35                                // 0000000035D4: 02464733
	v_add_f32_e32 v35, v52, v35                                // 0000000035D8: 02464734
	v_add_f32_e32 v35, v53, v35                                // 0000000035DC: 02464735
	v_add_f32_e32 v35, v54, v35                                // 0000000035E0: 02464736
	v_add_f32_e32 v35, v55, v35                                // 0000000035E4: 02464737
	v_add_f32_e32 v35, v56, v35                                // 0000000035E8: 02464738
	v_add_f32_e32 v35, v57, v35                                // 0000000035EC: 02464739
	v_add_f32_e32 v35, v58, v35                                // 0000000035F0: 0246473A
	v_add_f32_e32 v35, v59, v35                                // 0000000035F4: 0246473B
	v_add_f32_e32 v4, v35, v4                                  // 0000000035F8: 02080923
	v_cvt_pk_fp8_f32 v44, v44, v45                             // 0000000035FC: D2A2002C 00025B2C
	v_cvt_pk_fp8_f32 v44, v46, v47 op_sel:[0,0,1]              // 000000003604: D2A2402C 00025F2E
	v_cvt_pk_fp8_f32 v45, v48, v49                             // 00000000360C: D2A2002D 00026330
	v_cvt_pk_fp8_f32 v45, v50, v51 op_sel:[0,0,1]              // 000000003614: D2A2402D 00026732
	v_cvt_pk_fp8_f32 v46, v52, v53                             // 00000000361C: D2A2002E 00026B34
	v_cvt_pk_fp8_f32 v46, v54, v55 op_sel:[0,0,1]              // 000000003624: D2A2402E 00026F36
	v_cvt_pk_fp8_f32 v47, v56, v57                             // 00000000362C: D2A2002F 00027338
	v_cvt_pk_fp8_f32 v47, v58, v59 op_sel:[0,0,1]              // 000000003634: D2A2402F 0002773A
	ds_write_b128 v43, v[44:47] offset:1024                    // 00000000363C: D9BE0400 00002C2B
	s_waitcnt lgkmcnt(0)                                       // 000000003644: BF8CC07F
	s_barrier                                                  // 000000003648: BF8A0000
	ds_read_b128 v[44:47], v42 offset:1024                     // 00000000364C: D9FE0400 2C00002A
	ds_read_b128 v[48:51], v42 offset:2048                     // 000000003654: D9FE0800 3000002A
	s_waitcnt lgkmcnt(0)                                       // 00000000365C: BF8CC07F
	v_permlane32_swap_b32_e32 v44, v46                         // 000000003660: 7E58B52E
	v_permlane32_swap_b32_e32 v45, v47                         // 000000003664: 7E5AB52F
	v_swap_b32 v45, v46                                        // 000000003668: 7E5AA32E
	v_permlane32_swap_b32_e32 v48, v50                         // 00000000366C: 7E60B532
	v_permlane32_swap_b32_e32 v49, v51                         // 000000003670: 7E62B533
	v_swap_b32 v49, v50                                        // 000000003674: 7E62A332
	s_addk_i32 s70, 0x1                                        // 000000003678: B7460001
	s_cmp_eq_u32 s71, s70                                      // 00000000367C: BF064647
	s_cbranch_scc1 label_4E54                                  // 000000003680: BF850EF4
	s_waitcnt lgkmcnt(4)                                       // 000000003684: BF8CC47F
	v_mfma_f32_32x32x64_f8f6f4 v[60:75], a[72:79], a[0:7], 0   // 000000003688: D3AE003C 1A020148
	v_mul_u32_u24_e64 v217, v33, s68                           // 000000003690: D10800D9 00008921
	v_add_u32_e32 v217, v217, v1                               // 000000003698: 69B203D9
	buffer_load_dword v31, v34, s[24:27], 0 offen              // 00000000369C: E0501000 80061F22
	ds_read_b64_tr_b8 a[72:73], v9                             // 0000000036A4: DBC40000 48000009
	ds_read_b64_tr_b8 a[74:75], v10                            // 0000000036AC: DBC40000 4A00000A
	ds_read_b64_tr_b8 a[76:77], v9 offset:18432                // 0000000036B4: DBC44800 4C000009
	ds_read_b64_tr_b8 a[78:79], v10 offset:18432               // 0000000036BC: DBC44800 4E00000A
	v_mfma_f32_32x32x64_f8f6f4 v[60:75], a[80:87], a[8:15], v[60:75]// 0000000036C4: D3AE003C 1CF21150
	s_mov_b32 s56, 0x2000                                      // 0000000036CC: BEB800FF 00002000
	s_mul_i32 s57, s7, 0x2400                                  // 0000000036D4: 9239FF07 00002400
	s_add_u32 m0, s56, s57                                     // 0000000036DC: 807C3938
	buffer_load_dwordx4 v217, s[20:23], 0 offen lds            // 0000000036E0: E05D1000 800500D9
	s_add_i32 m0, m0, 0x3c0                                    // 0000000036E8: 817CFF7C 000003C0
	ds_read_b64_tr_b8 a[80:81], v11                            // 0000000036F0: DBC40000 5000000B
	ds_read_b64_tr_b8 a[82:83], v12                            // 0000000036F8: DBC40000 5200000C
	ds_read_b64_tr_b8 a[84:85], v11 offset:18432               // 000000003700: DBC44800 5400000B
	ds_read_b64_tr_b8 a[86:87], v12 offset:18432               // 000000003708: DBC44800 5600000C
	v_mfma_f32_32x32x64_f8f6f4 v[60:75], a[88:95], a[16:23], v[60:75]// 000000003710: D3AE003C 1CF22158
	ds_read_b64_tr_b8 a[88:89], v9 offset:1024                 // 000000003718: DBC40400 58000009
	ds_read_b64_tr_b8 a[90:91], v10 offset:1024                // 000000003720: DBC40400 5A00000A
	ds_read_b64_tr_b8 a[92:93], v9 offset:19456                // 000000003728: DBC44C00 5C000009
	ds_read_b64_tr_b8 a[94:95], v10 offset:19456               // 000000003730: DBC44C00 5E00000A
	v_mfma_f32_32x32x64_f8f6f4 v[60:75], a[96:103], a[24:31], v[60:75]// 000000003738: D3AE003C 1CF23160
	buffer_load_dwordx4 v217, s[20:23], 0 offen offset:64 lds  // 000000003740: E05D1040 800500D9
	s_add_i32 m0, m0, 0x3c0                                    // 000000003748: 817CFF7C 000003C0
	ds_read_b64_tr_b8 a[96:97], v11 offset:1024                // 000000003750: DBC40400 6000000B
	ds_read_b64_tr_b8 a[98:99], v12 offset:1024                // 000000003758: DBC40400 6200000C
	ds_read_b64_tr_b8 a[100:101], v11 offset:19456             // 000000003760: DBC44C00 6400000B
	ds_read_b64_tr_b8 a[102:103], v12 offset:19456             // 000000003768: DBC44C00 6600000C
	v_mfma_f32_32x32x64_f8f6f4 v[60:75], a[104:111], a[32:39], v[60:75]// 000000003770: D3AE003C 1CF24168
	ds_read_b64_tr_b8 a[104:105], v9 offset:2048               // 000000003778: DBC40800 68000009
	ds_read_b64_tr_b8 a[106:107], v10 offset:2048              // 000000003780: DBC40800 6A00000A
	ds_read_b64_tr_b8 a[108:109], v9 offset:20480              // 000000003788: DBC45000 6C000009
	ds_read_b64_tr_b8 a[110:111], v10 offset:20480             // 000000003790: DBC45000 6E00000A
	v_mfma_f32_32x32x64_f8f6f4 v[60:75], a[112:119], a[40:47], v[60:75]// 000000003798: D3AE003C 1CF25170
	buffer_load_dwordx4 v217, s[20:23], 0 offen offset:128 lds // 0000000037A0: E05D1080 800500D9
	s_add_i32 m0, m0, 0x3c0                                    // 0000000037A8: 817CFF7C 000003C0
	ds_read_b64_tr_b8 a[112:113], v11 offset:2048              // 0000000037B0: DBC40800 7000000B
	ds_read_b64_tr_b8 a[114:115], v12 offset:2048              // 0000000037B8: DBC40800 7200000C
	ds_read_b64_tr_b8 a[116:117], v11 offset:20480             // 0000000037C0: DBC45000 7400000B
	ds_read_b64_tr_b8 a[118:119], v12 offset:20480             // 0000000037C8: DBC45000 7600000C
	v_mfma_f32_32x32x64_f8f6f4 v[60:75], a[120:127], a[48:55], v[60:75]// 0000000037D0: D3AE003C 1CF26178
	ds_read_b64_tr_b8 a[120:121], v9 offset:3072               // 0000000037D8: DBC40C00 78000009
	ds_read_b64_tr_b8 a[122:123], v10 offset:3072              // 0000000037E0: DBC40C00 7A00000A
	ds_read_b64_tr_b8 a[124:125], v9 offset:21504              // 0000000037E8: DBC45400 7C000009
	ds_read_b64_tr_b8 a[126:127], v10 offset:21504             // 0000000037F0: DBC45400 7E00000A
	v_mfma_f32_32x32x64_f8f6f4 v[60:75], a[128:135], a[56:63], v[60:75]// 0000000037F8: D3AE003C 1CF27180
	buffer_load_dwordx4 v217, s[20:23], 0 offen offset:192 lds // 000000003800: E05D10C0 800500D9
	s_add_i32 m0, m0, 0x3c0                                    // 000000003808: 817CFF7C 000003C0
	ds_read_b64_tr_b8 a[128:129], v11 offset:3072              // 000000003810: DBC40C00 8000000B
	ds_read_b64_tr_b8 a[130:131], v12 offset:3072              // 000000003818: DBC40C00 8200000C
	ds_read_b64_tr_b8 a[132:133], v11 offset:21504             // 000000003820: DBC45400 8400000B
	ds_read_b64_tr_b8 a[134:135], v12 offset:21504             // 000000003828: DBC45400 8600000C
	v_mfma_f32_32x32x64_f8f6f4 v[60:75], a[136:143], a[64:71], v[60:75]// 000000003830: D3AE003C 1CF28188
	buffer_load_dwordx4 v217, s[20:23], 0 offen offset:256 lds // 000000003838: E05D1100 800500D9
	s_add_i32 m0, m0, 0x3c0                                    // 000000003840: 817CFF7C 000003C0
	buffer_load_dwordx4 v217, s[20:23], 0 offen offset:320 lds // 000000003848: E05D1140 800500D9
	s_add_i32 m0, m0, 0x3c0                                    // 000000003850: 817CFF7C 000003C0
	buffer_load_dwordx4 v217, s[20:23], 0 offen offset:384 lds // 000000003858: E05D1180 800500D9
	s_add_i32 m0, m0, 0x3c0                                    // 000000003860: 817CFF7C 000003C0
	buffer_load_dwordx4 v217, s[20:23], 0 offen offset:448 lds // 000000003868: E05D11C0 800500D9
	s_add_i32 m0, m0, 0x3c0                                    // 000000003870: 817CFF7C 000003C0
	buffer_load_dwordx4 v217, s[20:23], 0 offen offset:512 lds // 000000003878: E05D1200 800500D9
	s_add_i32 m0, m0, 0x3c0                                    // 000000003880: 817CFF7C 000003C0
	v_add_u32_e32 v34, s73, v34                                // 000000003888: 68444449
	s_addk_i32 s70, 0x1                                        // 00000000388C: B7460001
	s_cmp_eq_u32 s71, s70                                      // 000000003890: BF064647
	s_cbranch_scc1 label_502C                                  // 000000003894: BF850EE5
	s_cmp_lt_i32 s7, 2                                         // 000000003898: BF048207
	s_cbranch_scc0 label_3180                                  // 00000000389C: BF840738

00000000000038a0 <label_14A0>:
	v_mul_u32_u24_e64 v217, v30, s68                           // 0000000038A0: D10800D9 0000891E
	v_add_u32_e32 v217, v217, v1                               // 0000000038A8: 69B203D9
	s_waitcnt vmcnt(10)                                        // 0000000038AC: BF8C0F7A
	s_barrier                                                  // 0000000038B0: BF8A0000
	s_waitcnt lgkmcnt(8)                                       // 0000000038B4: BF8CC87F
	v_mfma_f32_32x32x64_f8f6f4 v[76:91], a[72:79], v[44:51], v[76:91]// 0000000038B8: D3AE004C 0D325948
	ds_read_b128 a[72:75], v28                                 // 0000000038C0: DBFE0000 4800001C
	ds_read_b128 a[76:79], v29                                 // 0000000038C8: DBFE0000 4C00001D
	v_mov_b32_e32 v213, v60                                    // 0000000038D0: 7FAA033C
	v_max3_f32 v213, v60, v61, v213                            // 0000000038D4: D1D300D5 07567B3C
	v_max3_f32 v213, v62, v63, v213                            // 0000000038DC: D1D300D5 07567F3E
	v_max3_f32 v213, v64, v65, v213                            // 0000000038E4: D1D300D5 07568340
	v_max3_f32 v213, v66, v67, v213                            // 0000000038EC: D1D300D5 07568742
	v_max3_f32 v213, v68, v69, v213                            // 0000000038F4: D1D300D5 07568B44
	v_max3_f32 v213, v70, v71, v213                            // 0000000038FC: D1D300D5 07568F46
	v_max3_f32 v213, v72, v73, v213                            // 000000003904: D1D300D5 07569348
	v_max3_f32 v213, v74, v75, v213                            // 00000000390C: D1D300D5 0756974A
	v_mov_b32_e32 v35, v213                                    // 000000003914: 7E4603D5
	v_mov_b32_e32 v36, v213                                    // 000000003918: 7E4803D5
	s_nop 0                                                    // 00000000391C: BF800000
	v_mfma_f32_32x32x64_f8f6f4 v[92:107], a[80:87], v[44:51], v[92:107]// 000000003920: D3AE005C 0D725950
	v_permlane32_swap_b32_e32 v35, v36                         // 000000003928: 7E46B524
	v_max3_f32 v213, v35, v36, v213                            // 00000000392C: D1D300D5 07564923
	ds_write_b32 v41, v213                                     // 000000003934: D81A0000 0000D529
	s_mov_b32 s56, 0xb000                                      // 00000000393C: BEB800FF 0000B000
	s_mul_i32 s57, s7, 0x2400                                  // 000000003944: 9239FF07 00002400
	s_add_u32 m0, s56, s57                                     // 00000000394C: 807C3938
	buffer_load_dwordx4 v217, s[20:23], 0 offen lds            // 000000003950: E05D1000 800500D9
	s_add_i32 m0, m0, 0x3c0                                    // 000000003958: 817CFF7C 000003C0
	buffer_load_dwordx4 v217, s[20:23], 0 offen offset:64 lds  // 000000003960: E05D1040 800500D9
	s_add_i32 m0, m0, 0x3c0                                    // 000000003968: 817CFF7C 000003C0
	s_waitcnt lgkmcnt(0)                                       // 000000003970: BF8CC07F
	s_barrier                                                  // 000000003974: BF8A0000
	v_mfma_f32_32x32x64_f8f6f4 v[108:123], a[88:95], v[44:51], v[108:123]// 000000003978: D3AE006C 0DB25958
	ds_read_b32 v35, v40                                       // 000000003980: D86C0000 23000028
	ds_read_b32 v36, v40 offset:256                            // 000000003988: D86C0100 24000028
	s_waitcnt lgkmcnt(0)                                       // 000000003990: BF8CC07F
	v_max3_f32 v213, v35, v36, v213                            // 000000003994: D1D300D5 07564923
	v_mov_b32_e32 v35, 0xff800000                              // 00000000399C: 7E4602FF FF800000
	v_cmp_eq_u32_e64 s[36:37], v35, v2                         // 0000000039A4: D0CA0024 00020523
	v_max_f32_e32 v216, v213, v2                               // 0000000039AC: 17B005D5
	v_sub_f32_e32 v21, v2, v216                                // 0000000039B0: 042BB102
	v_cndmask_b32_e64 v21, v21, 0, s[36:37]                    // 0000000039B4: D1000015 00910115
	v_mfma_f32_32x32x64_f8f6f4 v[124:139], a[96:103], v[44:51], v[124:139]// 0000000039BC: D3AE007C 0DF25960
	buffer_load_dwordx4 v217, s[20:23], 0 offen offset:128 lds // 0000000039C4: E05D1080 800500D9
	s_add_i32 m0, m0, 0x3c0                                    // 0000000039CC: 817CFF7C 000003C0
	v_mov_b32_e32 v2, v216                                     // 0000000039D4: 7E0403D8
	v_mul_f32_e32 v212, s5, v216                               // 0000000039D8: 0BA9B005
	v_mul_f32_e32 v21, s5, v21                                 // 0000000039DC: 0A2A2A05
	v_exp_f32_e32 v21, v21                                     // 0000000039E0: 7E2A4115
	v_fma_f32 v60, v60, s5, -v212                              // 0000000039E4: D1CB003C 87500B3C
	v_fma_f32 v61, v61, s5, -v212                              // 0000000039EC: D1CB003D 87500B3D
	v_fma_f32 v62, v62, s5, -v212                              // 0000000039F4: D1CB003E 87500B3E
	v_fma_f32 v63, v63, s5, -v212                              // 0000000039FC: D1CB003F 87500B3F
	v_fma_f32 v64, v64, s5, -v212                              // 000000003A04: D1CB0040 87500B40
	v_fma_f32 v65, v65, s5, -v212                              // 000000003A0C: D1CB0041 87500B41
	v_fma_f32 v66, v66, s5, -v212                              // 000000003A14: D1CB0042 87500B42
	v_fma_f32 v67, v67, s5, -v212                              // 000000003A1C: D1CB0043 87500B43
	v_fma_f32 v68, v68, s5, -v212                              // 000000003A24: D1CB0044 87500B44
	v_mfma_f32_32x32x64_f8f6f4 v[140:155], a[104:111], v[44:51], v[140:155]// 000000003A2C: D3AE008C 0E325968
	ds_read_b128 a[80:83], v28 offset:1024                     // 000000003A34: DBFE0400 5000001C
	ds_read_b128 a[84:87], v29 offset:1024                     // 000000003A3C: DBFE0400 5400001D
	ds_read_b128 a[88:91], v28 offset:2048                     // 000000003A44: DBFE0800 5800001C
	ds_read_b128 a[92:95], v29 offset:2048                     // 000000003A4C: DBFE0800 5C00001D
	ds_read_b128 a[96:99], v28 offset:3072                     // 000000003A54: DBFE0C00 6000001C
	ds_read_b128 a[100:103], v29 offset:3072                   // 000000003A5C: DBFE0C00 6400001D
	v_fma_f32 v69, v69, s5, -v212                              // 000000003A64: D1CB0045 87500B45
	v_fma_f32 v70, v70, s5, -v212                              // 000000003A6C: D1CB0046 87500B46
	v_fma_f32 v71, v71, s5, -v212                              // 000000003A74: D1CB0047 87500B47
	v_fma_f32 v72, v72, s5, -v212                              // 000000003A7C: D1CB0048 87500B48
	v_fma_f32 v73, v73, s5, -v212                              // 000000003A84: D1CB0049 87500B49
	v_fma_f32 v74, v74, s5, -v212                              // 000000003A8C: D1CB004A 87500B4A
	v_fma_f32 v75, v75, s5, -v212                              // 000000003A94: D1CB004B 87500B4B
	v_exp_f32_e32 v60, v60                                     // 000000003A9C: 7E78413C
	v_exp_f32_e32 v61, v61                                     // 000000003AA0: 7E7A413D
	v_mfma_f32_32x32x64_f8f6f4 v[156:171], a[112:119], v[44:51], v[156:171]// 000000003AA4: D3AE009C 0E725970
	buffer_load_dwordx4 v217, s[20:23], 0 offen offset:192 lds // 000000003AAC: E05D10C0 800500D9
	s_add_i32 m0, m0, 0x3c0                                    // 000000003AB4: 817CFF7C 000003C0
	v_exp_f32_e32 v62, v62                                     // 000000003ABC: 7E7C413E
	v_exp_f32_e32 v63, v63                                     // 000000003AC0: 7E7E413F
	v_exp_f32_e32 v64, v64                                     // 000000003AC4: 7E804140
	v_exp_f32_e32 v65, v65                                     // 000000003AC8: 7E824141
	v_exp_f32_e32 v66, v66                                     // 000000003ACC: 7E844142
	v_exp_f32_e32 v67, v67                                     // 000000003AD0: 7E864143
	v_exp_f32_e32 v68, v68                                     // 000000003AD4: 7E884144
	v_mfma_f32_32x32x64_f8f6f4 v[172:187], a[120:127], v[44:51], v[172:187]// 000000003AD8: D3AE00AC 0EB25978
	ds_read_b128 a[104:107], v28 offset:4096                   // 000000003AE0: DBFE1000 6800001C
	ds_read_b128 a[108:111], v29 offset:4096                   // 000000003AE8: DBFE1000 6C00001D
	ds_read_b128 a[112:115], v28 offset:5120                   // 000000003AF0: DBFE1400 7000001C
	ds_read_b128 a[116:119], v29 offset:5120                   // 000000003AF8: DBFE1400 7400001D
	ds_read_b128 a[120:123], v28 offset:6144                   // 000000003B00: DBFE1800 7800001C
	ds_read_b128 a[124:127], v29 offset:6144                   // 000000003B08: DBFE1800 7C00001D
	v_exp_f32_e32 v69, v69                                     // 000000003B10: 7E8A4145
	v_exp_f32_e32 v70, v70                                     // 000000003B14: 7E8C4146
	v_exp_f32_e32 v71, v71                                     // 000000003B18: 7E8E4147
	v_exp_f32_e32 v72, v72                                     // 000000003B1C: 7E904148
	v_exp_f32_e32 v73, v73                                     // 000000003B20: 7E924149
	v_mfma_f32_32x32x64_f8f6f4 v[188:203], a[128:135], v[44:51], v[188:203]// 000000003B24: D3AE00BC 0EF25980
	ds_read_b128 a[128:131], v28 offset:7168                   // 000000003B2C: DBFE1C00 8000001C
	ds_read_b128 a[132:135], v29 offset:7168                   // 000000003B34: DBFE1C00 8400001D
	ds_read_b128 a[136:139], v28 offset:8192                   // 000000003B3C: DBFE2000 8800001C
	ds_read_b128 a[140:143], v29 offset:8192                   // 000000003B44: DBFE2000 8C00001D
	v_exp_f32_e32 v74, v74                                     // 000000003B4C: 7E94414A
	v_exp_f32_e32 v75, v75                                     // 000000003B50: 7E96414B
	v_mul_f32_e32 v4, v21, v4                                  // 000000003B54: 0A080915
	v_mov_b32_e32 v35, v60                                     // 000000003B58: 7E46033C
	v_add_f32_e32 v35, v61, v35                                // 000000003B5C: 0246473D
	v_add_f32_e32 v35, v62, v35                                // 000000003B60: 0246473E
	v_add_f32_e32 v35, v63, v35                                // 000000003B64: 0246473F
	v_add_f32_e32 v35, v64, v35                                // 000000003B68: 02464740
	v_add_f32_e32 v35, v65, v35                                // 000000003B6C: 02464741
	v_add_f32_e32 v35, v66, v35                                // 000000003B70: 02464742
	v_add_f32_e32 v35, v67, v35                                // 000000003B74: 02464743
	v_add_f32_e32 v35, v68, v35                                // 000000003B78: 02464744
	v_add_f32_e32 v35, v69, v35                                // 000000003B7C: 02464745
	v_add_f32_e32 v35, v70, v35                                // 000000003B80: 02464746
	v_add_f32_e32 v35, v71, v35                                // 000000003B84: 02464747
	v_add_f32_e32 v35, v72, v35                                // 000000003B88: 02464748
	v_add_f32_e32 v35, v73, v35                                // 000000003B8C: 02464749
	v_add_f32_e32 v35, v74, v35                                // 000000003B90: 0246474A
	v_add_f32_e32 v35, v75, v35                                // 000000003B94: 0246474B
	v_add_f32_e32 v4, v35, v4                                  // 000000003B98: 02080923
	v_cvt_pk_fp8_f32 v60, v60, v61                             // 000000003B9C: D2A2003C 00027B3C
	v_cvt_pk_fp8_f32 v60, v62, v63 op_sel:[0,0,1]              // 000000003BA4: D2A2403C 00027F3E
	v_cvt_pk_fp8_f32 v61, v64, v65                             // 000000003BAC: D2A2003D 00028340
	v_cvt_pk_fp8_f32 v61, v66, v67 op_sel:[0,0,1]              // 000000003BB4: D2A2403D 00028742
	v_cvt_pk_fp8_f32 v62, v68, v69                             // 000000003BBC: D2A2003E 00028B44
	v_cvt_pk_fp8_f32 v62, v70, v71 op_sel:[0,0,1]              // 000000003BC4: D2A2403E 00028F46
	v_cvt_pk_fp8_f32 v63, v72, v73                             // 000000003BCC: D2A2003F 00029348
	v_cvt_pk_fp8_f32 v63, v74, v75 op_sel:[0,0,1]              // 000000003BD4: D2A2403F 0002974A
	s_waitcnt lgkmcnt(8)                                       // 000000003BDC: BF8CC87F
	v_mfma_f32_32x32x64_f8f6f4 v[44:59], a[72:79], a[0:7], 0   // 000000003BE0: D3AE002C 1A020148
	ds_write_b128 v43, v[60:63] offset:1024                    // 000000003BE8: D9BE0400 00003C2B
	buffer_load_dword v32, v34, s[24:27], 0 offen              // 000000003BF0: E0501000 80062022
	buffer_load_dwordx4 v217, s[20:23], 0 offen offset:256 lds // 000000003BF8: E05D1100 800500D9
	s_add_i32 m0, m0, 0x3c0                                    // 000000003C00: 817CFF7C 000003C0
	v_mul_f32_e32 v76, v21, v76                                // 000000003C08: 0A989915
	v_mul_f32_e32 v77, v21, v77                                // 000000003C0C: 0A9A9B15
	v_mul_f32_e32 v78, v21, v78                                // 000000003C10: 0A9C9D15
	v_mul_f32_e32 v79, v21, v79                                // 000000003C14: 0A9E9F15
	v_mul_f32_e32 v80, v21, v80                                // 000000003C18: 0AA0A115
	v_mul_f32_e32 v81, v21, v81                                // 000000003C1C: 0AA2A315
	v_mul_f32_e32 v82, v21, v82                                // 000000003C20: 0AA4A515
	v_mul_f32_e32 v83, v21, v83                                // 000000003C24: 0AA6A715
	v_mul_f32_e32 v84, v21, v84                                // 000000003C28: 0AA8A915
	v_mfma_f32_32x32x64_f8f6f4 v[44:59], a[80:87], a[8:15], v[44:59]// 000000003C2C: D3AE002C 1CB21150
	ds_read_b64_tr_b8 a[72:73], v13                            // 000000003C34: DBC40000 4800000D
	ds_read_b64_tr_b8 a[74:75], v14                            // 000000003C3C: DBC40000 4A00000E
	ds_read_b64_tr_b8 a[76:77], v13 offset:18432               // 000000003C44: DBC44800 4C00000D
	ds_read_b64_tr_b8 a[78:79], v14 offset:18432               // 000000003C4C: DBC44800 4E00000E
	ds_read_b64_tr_b8 a[80:81], v15                            // 000000003C54: DBC40000 5000000F
	ds_read_b64_tr_b8 a[82:83], v16                            // 000000003C5C: DBC40000 52000010
	ds_read_b64_tr_b8 a[84:85], v15 offset:18432               // 000000003C64: DBC44800 5400000F
	ds_read_b64_tr_b8 a[86:87], v16 offset:18432               // 000000003C6C: DBC44800 56000010
	v_mul_f32_e32 v85, v21, v85                                // 000000003C74: 0AAAAB15
	v_mul_f32_e32 v86, v21, v86                                // 000000003C78: 0AACAD15
	v_mul_f32_e32 v87, v21, v87                                // 000000003C7C: 0AAEAF15
	v_mul_f32_e32 v88, v21, v88                                // 000000003C80: 0AB0B115
	v_mul_f32_e32 v89, v21, v89                                // 000000003C84: 0AB2B315
	v_mul_f32_e32 v90, v21, v90                                // 000000003C88: 0AB4B515
	v_mul_f32_e32 v91, v21, v91                                // 000000003C8C: 0AB6B715
	v_mul_f32_e32 v92, v21, v92                                // 000000003C90: 0AB8B915
	v_mul_f32_e32 v93, v21, v93                                // 000000003C94: 0ABABB15
	v_mul_f32_e32 v94, v21, v94                                // 000000003C98: 0ABCBD15
	v_mul_f32_e32 v95, v21, v95                                // 000000003C9C: 0ABEBF15
	v_mul_f32_e32 v96, v21, v96                                // 000000003CA0: 0AC0C115
	s_waitcnt lgkmcnt(0)                                       // 000000003CA4: BF8CC07F
	s_barrier                                                  // 000000003CA8: BF8A0000
	v_mfma_f32_32x32x64_f8f6f4 v[44:59], a[88:95], a[16:23], v[44:59]// 000000003CAC: D3AE002C 1CB22158
	ds_read_b128 v[60:63], v42 offset:1024                     // 000000003CB4: D9FE0400 3C00002A
	ds_read_b128 v[64:67], v42 offset:2048                     // 000000003CBC: D9FE0800 4000002A
	buffer_load_dwordx4 v217, s[20:23], 0 offen offset:320 lds // 000000003CC4: E05D1140 800500D9
	s_add_i32 m0, m0, 0x3c0                                    // 000000003CCC: 817CFF7C 000003C0
	v_mul_f32_e32 v97, v21, v97                                // 000000003CD4: 0AC2C315
	v_mul_f32_e32 v98, v21, v98                                // 000000003CD8: 0AC4C515
	v_mul_f32_e32 v99, v21, v99                                // 000000003CDC: 0AC6C715
	v_mul_f32_e32 v100, v21, v100                              // 000000003CE0: 0AC8C915
	v_mul_f32_e32 v101, v21, v101                              // 000000003CE4: 0ACACB15
	v_mul_f32_e32 v102, v21, v102                              // 000000003CE8: 0ACCCD15
	v_mul_f32_e32 v103, v21, v103                              // 000000003CEC: 0ACECF15
	v_mul_f32_e32 v104, v21, v104                              // 000000003CF0: 0AD0D115
	v_mul_f32_e32 v105, v21, v105                              // 000000003CF4: 0AD2D315
	v_mul_f32_e32 v106, v21, v106                              // 000000003CF8: 0AD4D515
	v_mul_f32_e32 v107, v21, v107                              // 000000003CFC: 0AD6D715
	v_mul_f32_e32 v108, v21, v108                              // 000000003D00: 0AD8D915
	v_add_u32_e32 v34, s73, v34                                // 000000003D04: 68444449
	v_mfma_f32_32x32x64_f8f6f4 v[44:59], a[96:103], a[24:31], v[44:59]// 000000003D08: D3AE002C 1CB23160
	ds_read_b64_tr_b8 a[88:89], v13 offset:1024                // 000000003D10: DBC40400 5800000D
	ds_read_b64_tr_b8 a[90:91], v14 offset:1024                // 000000003D18: DBC40400 5A00000E
	ds_read_b64_tr_b8 a[92:93], v13 offset:19456               // 000000003D20: DBC44C00 5C00000D
	ds_read_b64_tr_b8 a[94:95], v14 offset:19456               // 000000003D28: DBC44C00 5E00000E
	ds_read_b64_tr_b8 a[96:97], v15 offset:1024                // 000000003D30: DBC40400 6000000F
	ds_read_b64_tr_b8 a[98:99], v16 offset:1024                // 000000003D38: DBC40400 62000010
	ds_read_b64_tr_b8 a[100:101], v15 offset:19456             // 000000003D40: DBC44C00 6400000F
	ds_read_b64_tr_b8 a[102:103], v16 offset:19456             // 000000003D48: DBC44C00 66000010
	v_mul_f32_e32 v109, v21, v109                              // 000000003D50: 0ADADB15
	v_mul_f32_e32 v110, v21, v110                              // 000000003D54: 0ADCDD15
	v_mul_f32_e32 v111, v21, v111                              // 000000003D58: 0ADEDF15
	v_mul_f32_e32 v112, v21, v112                              // 000000003D5C: 0AE0E115
	v_mul_f32_e32 v113, v21, v113                              // 000000003D60: 0AE2E315
	v_mul_f32_e32 v114, v21, v114                              // 000000003D64: 0AE4E515
	v_mul_f32_e32 v115, v21, v115                              // 000000003D68: 0AE6E715
	v_mul_f32_e32 v116, v21, v116                              // 000000003D6C: 0AE8E915
	v_mul_f32_e32 v117, v21, v117                              // 000000003D70: 0AEAEB15
	v_mul_f32_e32 v118, v21, v118                              // 000000003D74: 0AECED15
	v_mul_f32_e32 v119, v21, v119                              // 000000003D78: 0AEEEF15
	v_mul_f32_e32 v120, v21, v120                              // 000000003D7C: 0AF0F115
	v_mfma_f32_32x32x64_f8f6f4 v[44:59], a[104:111], a[32:39], v[44:59]// 000000003D80: D3AE002C 1CB24168
	buffer_load_dwordx4 v217, s[20:23], 0 offen offset:384 lds // 000000003D88: E05D1180 800500D9
	s_add_i32 m0, m0, 0x3c0                                    // 000000003D90: 817CFF7C 000003C0
	v_mul_f32_e32 v121, v21, v121                              // 000000003D98: 0AF2F315
	v_mul_f32_e32 v122, v21, v122                              // 000000003D9C: 0AF4F515
	v_mul_f32_e32 v123, v21, v123                              // 000000003DA0: 0AF6F715
	v_mul_f32_e32 v124, v21, v124                              // 000000003DA4: 0AF8F915
	v_mul_f32_e32 v125, v21, v125                              // 000000003DA8: 0AFAFB15
	v_mul_f32_e32 v126, v21, v126                              // 000000003DAC: 0AFCFD15
	v_mul_f32_e32 v127, v21, v127                              // 000000003DB0: 0AFEFF15
	v_mul_f32_e32 v128, v21, v128                              // 000000003DB4: 0B010115
	v_mul_f32_e32 v129, v21, v129                              // 000000003DB8: 0B030315
	v_mul_f32_e32 v130, v21, v130                              // 000000003DBC: 0B050515
	v_mul_f32_e32 v131, v21, v131                              // 000000003DC0: 0B070715
	v_mul_f32_e32 v132, v21, v132                              // 000000003DC4: 0B090915
	v_mfma_f32_32x32x64_f8f6f4 v[44:59], a[112:119], a[40:47], v[44:59]// 000000003DC8: D3AE002C 1CB25170
	s_waitcnt lgkmcnt(0)                                       // 000000003DD0: BF8CC07F
	ds_read_b64_tr_b8 a[104:105], v13 offset:2048              // 000000003DD4: DBC40800 6800000D
	ds_read_b64_tr_b8 a[106:107], v14 offset:2048              // 000000003DDC: DBC40800 6A00000E
	ds_read_b64_tr_b8 a[108:109], v13 offset:20480             // 000000003DE4: DBC45000 6C00000D
	ds_read_b64_tr_b8 a[110:111], v14 offset:20480             // 000000003DEC: DBC45000 6E00000E
	ds_read_b64_tr_b8 a[112:113], v15 offset:2048              // 000000003DF4: DBC40800 7000000F
	ds_read_b64_tr_b8 a[114:115], v16 offset:2048              // 000000003DFC: DBC40800 72000010
	ds_read_b64_tr_b8 a[116:117], v15 offset:20480             // 000000003E04: DBC45000 7400000F
	ds_read_b64_tr_b8 a[118:119], v16 offset:20480             // 000000003E0C: DBC45000 76000010
	v_mul_f32_e32 v133, v21, v133                              // 000000003E14: 0B0B0B15
	v_mul_f32_e32 v134, v21, v134                              // 000000003E18: 0B0D0D15
	v_mul_f32_e32 v135, v21, v135                              // 000000003E1C: 0B0F0F15
	v_mul_f32_e32 v136, v21, v136                              // 000000003E20: 0B111115
	v_mul_f32_e32 v137, v21, v137                              // 000000003E24: 0B131315
	v_mul_f32_e32 v138, v21, v138                              // 000000003E28: 0B151515
	v_mul_f32_e32 v139, v21, v139                              // 000000003E2C: 0B171715
	v_mfma_f32_32x32x64_f8f6f4 v[44:59], a[120:127], a[48:55], v[44:59]// 000000003E30: D3AE002C 1CB26178
	buffer_load_dwordx4 v217, s[20:23], 0 offen offset:448 lds // 000000003E38: E05D11C0 800500D9
	s_add_i32 m0, m0, 0x3c0                                    // 000000003E40: 817CFF7C 000003C0
	v_permlane32_swap_b32_e32 v60, v62                         // 000000003E48: 7E78B53E
	v_permlane32_swap_b32_e32 v61, v63                         // 000000003E4C: 7E7AB53F
	v_swap_b32 v61, v62                                        // 000000003E50: 7E7AA33E
	v_permlane32_swap_b32_e32 v64, v66                         // 000000003E54: 7E80B542
	v_permlane32_swap_b32_e32 v65, v67                         // 000000003E58: 7E82B543
	v_swap_b32 v65, v66                                        // 000000003E5C: 7E82A342
	v_mfma_f32_32x32x64_f8f6f4 v[44:59], a[128:135], a[56:63], v[44:59]// 000000003E60: D3AE002C 1CB27180
	ds_read_b64_tr_b8 a[120:121], v13 offset:3072              // 000000003E68: DBC40C00 7800000D
	ds_read_b64_tr_b8 a[122:123], v14 offset:3072              // 000000003E70: DBC40C00 7A00000E
	ds_read_b64_tr_b8 a[124:125], v13 offset:21504             // 000000003E78: DBC45400 7C00000D
	ds_read_b64_tr_b8 a[126:127], v14 offset:21504             // 000000003E80: DBC45400 7E00000E
	ds_read_b64_tr_b8 a[128:129], v15 offset:3072              // 000000003E88: DBC40C00 8000000F
	ds_read_b64_tr_b8 a[130:131], v16 offset:3072              // 000000003E90: DBC40C00 82000010
	ds_read_b64_tr_b8 a[132:133], v15 offset:21504             // 000000003E98: DBC45400 8400000F
	ds_read_b64_tr_b8 a[134:135], v16 offset:21504             // 000000003EA0: DBC45400 86000010
	v_mov_b32_e32 v36, v21                                     // 000000003EA8: 7E480315
	v_mov_b32_e32 v37, v21                                     // 000000003EAC: 7E4A0315
	v_pk_mul_f32 v[140:141], v[36:37], v[140:141]              // 000000003EB0: D3B1408C 18031924
	v_pk_mul_f32 v[142:143], v[36:37], v[142:143]              // 000000003EB8: D3B1408E 18031D24
	v_pk_mul_f32 v[144:145], v[36:37], v[144:145]              // 000000003EC0: D3B14090 18032124
	v_pk_mul_f32 v[146:147], v[36:37], v[146:147]              // 000000003EC8: D3B14092 18032524
	v_pk_mul_f32 v[148:149], v[36:37], v[148:149]              // 000000003ED0: D3B14094 18032924
	v_pk_mul_f32 v[150:151], v[36:37], v[150:151]              // 000000003ED8: D3B14096 18032D24
	v_pk_mul_f32 v[152:153], v[36:37], v[152:153]              // 000000003EE0: D3B14098 18033124
	v_pk_mul_f32 v[154:155], v[36:37], v[154:155]              // 000000003EE8: D3B1409A 18033524
	v_pk_mul_f32 v[156:157], v[36:37], v[156:157]              // 000000003EF0: D3B1409C 18033924
	v_pk_mul_f32 v[158:159], v[36:37], v[158:159]              // 000000003EF8: D3B1409E 18033D24
	v_pk_mul_f32 v[160:161], v[36:37], v[160:161]              // 000000003F00: D3B140A0 18034124
	v_pk_mul_f32 v[162:163], v[36:37], v[162:163]              // 000000003F08: D3B140A2 18034524
	v_pk_mul_f32 v[164:165], v[36:37], v[164:165]              // 000000003F10: D3B140A4 18034924
	v_pk_mul_f32 v[166:167], v[36:37], v[166:167]              // 000000003F18: D3B140A6 18034D24
	v_pk_mul_f32 v[168:169], v[36:37], v[168:169]              // 000000003F20: D3B140A8 18035124
	v_pk_mul_f32 v[170:171], v[36:37], v[170:171]              // 000000003F28: D3B140AA 18035524
	v_pk_mul_f32 v[172:173], v[36:37], v[172:173]              // 000000003F30: D3B140AC 18035924
	v_pk_mul_f32 v[174:175], v[36:37], v[174:175]              // 000000003F38: D3B140AE 18035D24
	v_pk_mul_f32 v[176:177], v[36:37], v[176:177]              // 000000003F40: D3B140B0 18036124
	v_pk_mul_f32 v[178:179], v[36:37], v[178:179]              // 000000003F48: D3B140B2 18036524
	v_pk_mul_f32 v[180:181], v[36:37], v[180:181]              // 000000003F50: D3B140B4 18036924
	v_pk_mul_f32 v[182:183], v[36:37], v[182:183]              // 000000003F58: D3B140B6 18036D24
	v_pk_mul_f32 v[184:185], v[36:37], v[184:185]              // 000000003F60: D3B140B8 18037124
	v_pk_mul_f32 v[186:187], v[36:37], v[186:187]              // 000000003F68: D3B140BA 18037524
	v_pk_mul_f32 v[188:189], v[36:37], v[188:189]              // 000000003F70: D3B140BC 18037924
	v_pk_mul_f32 v[190:191], v[36:37], v[190:191]              // 000000003F78: D3B140BE 18037D24
	v_pk_mul_f32 v[192:193], v[36:37], v[192:193]              // 000000003F80: D3B140C0 18038124
	v_pk_mul_f32 v[194:195], v[36:37], v[194:195]              // 000000003F88: D3B140C2 18038524
	v_pk_mul_f32 v[196:197], v[36:37], v[196:197]              // 000000003F90: D3B140C4 18038924
	v_pk_mul_f32 v[198:199], v[36:37], v[198:199]              // 000000003F98: D3B140C6 18038D24
	v_pk_mul_f32 v[200:201], v[36:37], v[200:201]              // 000000003FA0: D3B140C8 18039124
	v_pk_mul_f32 v[202:203], v[36:37], v[202:203]              // 000000003FA8: D3B140CA 18039524
	v_mfma_f32_32x32x64_f8f6f4 v[44:59], a[136:143], a[64:71], v[44:59]// 000000003FB0: D3AE002C 1CB28188
	buffer_load_dwordx4 v217, s[20:23], 0 offen offset:512 lds // 000000003FB8: E05D1200 800500D9
	s_add_i32 m0, m0, 0x3c0                                    // 000000003FC0: 817CFF7C 000003C0
	s_addk_i32 s70, 0x1                                        // 000000003FC8: B7460001
	s_cmp_lt_i32 s70, s71                                      // 000000003FCC: BF044746
	s_cbranch_scc0 label_3174                                  // 000000003FD0: BF840568
	v_mul_u32_u24_e64 v217, v31, s68                           // 000000003FD4: D10800D9 0000891F
	v_add_u32_e32 v217, v217, v1                               // 000000003FDC: 69B203D9
	s_waitcnt vmcnt(10)                                        // 000000003FE0: BF8C0F7A
	s_barrier                                                  // 000000003FE4: BF8A0000
	s_waitcnt lgkmcnt(8)                                       // 000000003FE8: BF8CC87F
	v_mfma_f32_32x32x64_f8f6f4 v[76:91], a[72:79], v[60:67], v[76:91]// 000000003FEC: D3AE004C 0D327948
	ds_read_b128 a[72:75], v22                                 // 000000003FF4: DBFE0000 48000016
	ds_read_b128 a[76:79], v23                                 // 000000003FFC: DBFE0000 4C000017
	v_mov_b32_e32 v213, v44                                    // 000000004004: 7FAA032C
	v_max3_f32 v213, v44, v45, v213                            // 000000004008: D1D300D5 07565B2C
	v_max3_f32 v213, v46, v47, v213                            // 000000004010: D1D300D5 07565F2E
	v_max3_f32 v213, v48, v49, v213                            // 000000004018: D1D300D5 07566330
	v_max3_f32 v213, v50, v51, v213                            // 000000004020: D1D300D5 07566732
	v_max3_f32 v213, v52, v53, v213                            // 000000004028: D1D300D5 07566B34
	v_max3_f32 v213, v54, v55, v213                            // 000000004030: D1D300D5 07566F36
	v_max3_f32 v213, v56, v57, v213                            // 000000004038: D1D300D5 07567338
	v_max3_f32 v213, v58, v59, v213                            // 000000004040: D1D300D5 0756773A
	v_mov_b32_e32 v35, v213                                    // 000000004048: 7E4603D5
	v_mov_b32_e32 v36, v213                                    // 00000000404C: 7E4803D5
	s_nop 0                                                    // 000000004050: BF800000
	v_mfma_f32_32x32x64_f8f6f4 v[92:107], a[80:87], v[60:67], v[92:107]// 000000004054: D3AE005C 0D727950
	v_permlane32_swap_b32_e32 v35, v36                         // 00000000405C: 7E46B524
	v_max3_f32 v213, v35, v36, v213                            // 000000004060: D1D300D5 07564923
	ds_write_b32 v41, v213                                     // 000000004068: D81A0000 0000D529
	s_mov_b32 s56, 0x14000                                     // 000000004070: BEB800FF 00014000
	s_mul_i32 s57, s7, 0x2400                                  // 000000004078: 9239FF07 00002400
	s_add_u32 m0, s56, s57                                     // 000000004080: 807C3938
	buffer_load_dwordx4 v217, s[20:23], 0 offen lds            // 000000004084: E05D1000 800500D9
	s_add_i32 m0, m0, 0x3c0                                    // 00000000408C: 817CFF7C 000003C0
	buffer_load_dwordx4 v217, s[20:23], 0 offen offset:64 lds  // 000000004094: E05D1040 800500D9
	s_add_i32 m0, m0, 0x3c0                                    // 00000000409C: 817CFF7C 000003C0
	s_waitcnt lgkmcnt(0)                                       // 0000000040A4: BF8CC07F
	s_barrier                                                  // 0000000040A8: BF8A0000
	v_mfma_f32_32x32x64_f8f6f4 v[108:123], a[88:95], v[60:67], v[108:123]// 0000000040AC: D3AE006C 0DB27958
	ds_read_b32 v35, v40                                       // 0000000040B4: D86C0000 23000028
	ds_read_b32 v36, v40 offset:256                            // 0000000040BC: D86C0100 24000028
	s_waitcnt lgkmcnt(0)                                       // 0000000040C4: BF8CC07F
	v_max3_f32 v213, v35, v36, v213                            // 0000000040C8: D1D300D5 07564923
	v_mov_b32_e32 v35, 0xff800000                              // 0000000040D0: 7E4602FF FF800000
	v_cmp_eq_u32_e64 s[36:37], v35, v2                         // 0000000040D8: D0CA0024 00020523
	v_max_f32_e32 v216, v213, v2                               // 0000000040E0: 17B005D5
	v_sub_f32_e32 v21, v2, v216                                // 0000000040E4: 042BB102
	v_cndmask_b32_e64 v21, v21, 0, s[36:37]                    // 0000000040E8: D1000015 00910115
	v_mfma_f32_32x32x64_f8f6f4 v[124:139], a[96:103], v[60:67], v[124:139]// 0000000040F0: D3AE007C 0DF27960
	buffer_load_dwordx4 v217, s[20:23], 0 offen offset:128 lds // 0000000040F8: E05D1080 800500D9
	s_add_i32 m0, m0, 0x3c0                                    // 000000004100: 817CFF7C 000003C0
	v_mov_b32_e32 v2, v216                                     // 000000004108: 7E0403D8
	v_mul_f32_e32 v212, s5, v216                               // 00000000410C: 0BA9B005
	v_mul_f32_e32 v21, s5, v21                                 // 000000004110: 0A2A2A05
	v_exp_f32_e32 v21, v21                                     // 000000004114: 7E2A4115
	v_fma_f32 v44, v44, s5, -v212                              // 000000004118: D1CB002C 87500B2C
	v_fma_f32 v45, v45, s5, -v212                              // 000000004120: D1CB002D 87500B2D
	v_fma_f32 v46, v46, s5, -v212                              // 000000004128: D1CB002E 87500B2E
	v_fma_f32 v47, v47, s5, -v212                              // 000000004130: D1CB002F 87500B2F
	v_fma_f32 v48, v48, s5, -v212                              // 000000004138: D1CB0030 87500B30
	v_fma_f32 v49, v49, s5, -v212                              // 000000004140: D1CB0031 87500B31
	v_fma_f32 v50, v50, s5, -v212                              // 000000004148: D1CB0032 87500B32
	v_fma_f32 v51, v51, s5, -v212                              // 000000004150: D1CB0033 87500B33
	v_fma_f32 v52, v52, s5, -v212                              // 000000004158: D1CB0034 87500B34
	v_mfma_f32_32x32x64_f8f6f4 v[140:155], a[104:111], v[60:67], v[140:155]// 000000004160: D3AE008C 0E327968
	ds_read_b128 a[80:83], v22 offset:1024                     // 000000004168: DBFE0400 50000016
	ds_read_b128 a[84:87], v23 offset:1024                     // 000000004170: DBFE0400 54000017
	ds_read_b128 a[88:91], v22 offset:2048                     // 000000004178: DBFE0800 58000016
	ds_read_b128 a[92:95], v23 offset:2048                     // 000000004180: DBFE0800 5C000017
	ds_read_b128 a[96:99], v22 offset:3072                     // 000000004188: DBFE0C00 60000016
	ds_read_b128 a[100:103], v23 offset:3072                   // 000000004190: DBFE0C00 64000017
	v_fma_f32 v53, v53, s5, -v212                              // 000000004198: D1CB0035 87500B35
	v_fma_f32 v54, v54, s5, -v212                              // 0000000041A0: D1CB0036 87500B36
	v_fma_f32 v55, v55, s5, -v212                              // 0000000041A8: D1CB0037 87500B37
	v_fma_f32 v56, v56, s5, -v212                              // 0000000041B0: D1CB0038 87500B38
	v_fma_f32 v57, v57, s5, -v212                              // 0000000041B8: D1CB0039 87500B39
	v_fma_f32 v58, v58, s5, -v212                              // 0000000041C0: D1CB003A 87500B3A
	v_fma_f32 v59, v59, s5, -v212                              // 0000000041C8: D1CB003B 87500B3B
	v_exp_f32_e32 v44, v44                                     // 0000000041D0: 7E58412C
	v_exp_f32_e32 v45, v45                                     // 0000000041D4: 7E5A412D
	v_mfma_f32_32x32x64_f8f6f4 v[156:171], a[112:119], v[60:67], v[156:171]// 0000000041D8: D3AE009C 0E727970
	buffer_load_dwordx4 v217, s[20:23], 0 offen offset:192 lds // 0000000041E0: E05D10C0 800500D9
	s_add_i32 m0, m0, 0x3c0                                    // 0000000041E8: 817CFF7C 000003C0
	v_exp_f32_e32 v46, v46                                     // 0000000041F0: 7E5C412E
	v_exp_f32_e32 v47, v47                                     // 0000000041F4: 7E5E412F
	v_exp_f32_e32 v48, v48                                     // 0000000041F8: 7E604130
	v_exp_f32_e32 v49, v49                                     // 0000000041FC: 7E624131
	v_exp_f32_e32 v50, v50                                     // 000000004200: 7E644132
	v_exp_f32_e32 v51, v51                                     // 000000004204: 7E664133
	v_exp_f32_e32 v52, v52                                     // 000000004208: 7E684134
	v_mfma_f32_32x32x64_f8f6f4 v[172:187], a[120:127], v[60:67], v[172:187]// 00000000420C: D3AE00AC 0EB27978
	ds_read_b128 a[104:107], v22 offset:4096                   // 000000004214: DBFE1000 68000016
	ds_read_b128 a[108:111], v23 offset:4096                   // 00000000421C: DBFE1000 6C000017
	ds_read_b128 a[112:115], v22 offset:5120                   // 000000004224: DBFE1400 70000016
	ds_read_b128 a[116:119], v23 offset:5120                   // 00000000422C: DBFE1400 74000017
	ds_read_b128 a[120:123], v22 offset:6144                   // 000000004234: DBFE1800 78000016
	ds_read_b128 a[124:127], v23 offset:6144                   // 00000000423C: DBFE1800 7C000017
	v_exp_f32_e32 v53, v53                                     // 000000004244: 7E6A4135
	v_exp_f32_e32 v54, v54                                     // 000000004248: 7E6C4136
	v_exp_f32_e32 v55, v55                                     // 00000000424C: 7E6E4137
	v_exp_f32_e32 v56, v56                                     // 000000004250: 7E704138
	v_exp_f32_e32 v57, v57                                     // 000000004254: 7E724139
	v_mfma_f32_32x32x64_f8f6f4 v[188:203], a[128:135], v[60:67], v[188:203]// 000000004258: D3AE00BC 0EF27980
	ds_read_b128 a[128:131], v22 offset:7168                   // 000000004260: DBFE1C00 80000016
	ds_read_b128 a[132:135], v23 offset:7168                   // 000000004268: DBFE1C00 84000017
	ds_read_b128 a[136:139], v22 offset:8192                   // 000000004270: DBFE2000 88000016
	ds_read_b128 a[140:143], v23 offset:8192                   // 000000004278: DBFE2000 8C000017
	v_exp_f32_e32 v58, v58                                     // 000000004280: 7E74413A
	v_exp_f32_e32 v59, v59                                     // 000000004284: 7E76413B
	v_mul_f32_e32 v4, v21, v4                                  // 000000004288: 0A080915
	v_mov_b32_e32 v35, v44                                     // 00000000428C: 7E46032C
	v_add_f32_e32 v35, v45, v35                                // 000000004290: 0246472D
	v_add_f32_e32 v35, v46, v35                                // 000000004294: 0246472E
	v_add_f32_e32 v35, v47, v35                                // 000000004298: 0246472F
	v_add_f32_e32 v35, v48, v35                                // 00000000429C: 02464730
	v_add_f32_e32 v35, v49, v35                                // 0000000042A0: 02464731
	v_add_f32_e32 v35, v50, v35                                // 0000000042A4: 02464732
	v_add_f32_e32 v35, v51, v35                                // 0000000042A8: 02464733
	v_add_f32_e32 v35, v52, v35                                // 0000000042AC: 02464734
	v_add_f32_e32 v35, v53, v35                                // 0000000042B0: 02464735
	v_add_f32_e32 v35, v54, v35                                // 0000000042B4: 02464736
	v_add_f32_e32 v35, v55, v35                                // 0000000042B8: 02464737
	v_add_f32_e32 v35, v56, v35                                // 0000000042BC: 02464738
	v_add_f32_e32 v35, v57, v35                                // 0000000042C0: 02464739
	v_add_f32_e32 v35, v58, v35                                // 0000000042C4: 0246473A
	v_add_f32_e32 v35, v59, v35                                // 0000000042C8: 0246473B
	v_add_f32_e32 v4, v35, v4                                  // 0000000042CC: 02080923
	v_cvt_pk_fp8_f32 v44, v44, v45                             // 0000000042D0: D2A2002C 00025B2C
	v_cvt_pk_fp8_f32 v44, v46, v47 op_sel:[0,0,1]              // 0000000042D8: D2A2402C 00025F2E
	v_cvt_pk_fp8_f32 v45, v48, v49                             // 0000000042E0: D2A2002D 00026330
	v_cvt_pk_fp8_f32 v45, v50, v51 op_sel:[0,0,1]              // 0000000042E8: D2A2402D 00026732
	v_cvt_pk_fp8_f32 v46, v52, v53                             // 0000000042F0: D2A2002E 00026B34
	v_cvt_pk_fp8_f32 v46, v54, v55 op_sel:[0,0,1]              // 0000000042F8: D2A2402E 00026F36
	v_cvt_pk_fp8_f32 v47, v56, v57                             // 000000004300: D2A2002F 00027338
	v_cvt_pk_fp8_f32 v47, v58, v59 op_sel:[0,0,1]              // 000000004308: D2A2402F 0002773A
	s_waitcnt lgkmcnt(8)                                       // 000000004310: BF8CC87F
	v_mfma_f32_32x32x64_f8f6f4 v[60:75], a[72:79], a[0:7], 0   // 000000004314: D3AE003C 1A020148
	ds_write_b128 v43, v[44:47] offset:1024                    // 00000000431C: D9BE0400 00002C2B
	buffer_load_dword v33, v34, s[24:27], 0 offen              // 000000004324: E0501000 80062122
	buffer_load_dwordx4 v217, s[20:23], 0 offen offset:256 lds // 00000000432C: E05D1100 800500D9
	s_add_i32 m0, m0, 0x3c0                                    // 000000004334: 817CFF7C 000003C0
	v_mul_f32_e32 v76, v21, v76                                // 00000000433C: 0A989915
	v_mul_f32_e32 v77, v21, v77                                // 000000004340: 0A9A9B15
	v_mul_f32_e32 v78, v21, v78                                // 000000004344: 0A9C9D15
	v_mul_f32_e32 v79, v21, v79                                // 000000004348: 0A9E9F15
	v_mul_f32_e32 v80, v21, v80                                // 00000000434C: 0AA0A115
	v_mul_f32_e32 v81, v21, v81                                // 000000004350: 0AA2A315
	v_mul_f32_e32 v82, v21, v82                                // 000000004354: 0AA4A515
	v_mul_f32_e32 v83, v21, v83                                // 000000004358: 0AA6A715
	v_mul_f32_e32 v84, v21, v84                                // 00000000435C: 0AA8A915
	v_mfma_f32_32x32x64_f8f6f4 v[60:75], a[80:87], a[8:15], v[60:75]// 000000004360: D3AE003C 1CF21150
	ds_read_b64_tr_b8 a[72:73], v17                            // 000000004368: DBC40000 48000011
	ds_read_b64_tr_b8 a[74:75], v18                            // 000000004370: DBC40000 4A000012
	ds_read_b64_tr_b8 a[76:77], v17 offset:18432               // 000000004378: DBC44800 4C000011
	ds_read_b64_tr_b8 a[78:79], v18 offset:18432               // 000000004380: DBC44800 4E000012
	ds_read_b64_tr_b8 a[80:81], v19                            // 000000004388: DBC40000 50000013
	ds_read_b64_tr_b8 a[82:83], v20                            // 000000004390: DBC40000 52000014
	ds_read_b64_tr_b8 a[84:85], v19 offset:18432               // 000000004398: DBC44800 54000013
	ds_read_b64_tr_b8 a[86:87], v20 offset:18432               // 0000000043A0: DBC44800 56000014
	v_mul_f32_e32 v85, v21, v85                                // 0000000043A8: 0AAAAB15
	v_mul_f32_e32 v86, v21, v86                                // 0000000043AC: 0AACAD15
	v_mul_f32_e32 v87, v21, v87                                // 0000000043B0: 0AAEAF15
	v_mul_f32_e32 v88, v21, v88                                // 0000000043B4: 0AB0B115
	v_mul_f32_e32 v89, v21, v89                                // 0000000043B8: 0AB2B315
	v_mul_f32_e32 v90, v21, v90                                // 0000000043BC: 0AB4B515
	v_mul_f32_e32 v91, v21, v91                                // 0000000043C0: 0AB6B715
	v_mul_f32_e32 v92, v21, v92                                // 0000000043C4: 0AB8B915
	v_mul_f32_e32 v93, v21, v93                                // 0000000043C8: 0ABABB15
	v_mul_f32_e32 v94, v21, v94                                // 0000000043CC: 0ABCBD15
	v_mul_f32_e32 v95, v21, v95                                // 0000000043D0: 0ABEBF15
	v_mul_f32_e32 v96, v21, v96                                // 0000000043D4: 0AC0C115
	s_waitcnt lgkmcnt(0)                                       // 0000000043D8: BF8CC07F
	s_barrier                                                  // 0000000043DC: BF8A0000
	v_mfma_f32_32x32x64_f8f6f4 v[60:75], a[88:95], a[16:23], v[60:75]// 0000000043E0: D3AE003C 1CF22158
	ds_read_b128 v[44:47], v42 offset:1024                     // 0000000043E8: D9FE0400 2C00002A
	ds_read_b128 v[48:51], v42 offset:2048                     // 0000000043F0: D9FE0800 3000002A
	buffer_load_dwordx4 v217, s[20:23], 0 offen offset:320 lds // 0000000043F8: E05D1140 800500D9
	s_add_i32 m0, m0, 0x3c0                                    // 000000004400: 817CFF7C 000003C0
	v_mul_f32_e32 v97, v21, v97                                // 000000004408: 0AC2C315
	v_mul_f32_e32 v98, v21, v98                                // 00000000440C: 0AC4C515
	v_mul_f32_e32 v99, v21, v99                                // 000000004410: 0AC6C715
	v_mul_f32_e32 v100, v21, v100                              // 000000004414: 0AC8C915
	v_mul_f32_e32 v101, v21, v101                              // 000000004418: 0ACACB15
	v_mul_f32_e32 v102, v21, v102                              // 00000000441C: 0ACCCD15
	v_mul_f32_e32 v103, v21, v103                              // 000000004420: 0ACECF15
	v_mul_f32_e32 v104, v21, v104                              // 000000004424: 0AD0D115
	v_mul_f32_e32 v105, v21, v105                              // 000000004428: 0AD2D315
	v_mul_f32_e32 v106, v21, v106                              // 00000000442C: 0AD4D515
	v_mul_f32_e32 v107, v21, v107                              // 000000004430: 0AD6D715
	v_mul_f32_e32 v108, v21, v108                              // 000000004434: 0AD8D915
	v_add_u32_e32 v34, s73, v34                                // 000000004438: 68444449
	v_mfma_f32_32x32x64_f8f6f4 v[60:75], a[96:103], a[24:31], v[60:75]// 00000000443C: D3AE003C 1CF23160
	ds_read_b64_tr_b8 a[88:89], v17 offset:1024                // 000000004444: DBC40400 58000011
	ds_read_b64_tr_b8 a[90:91], v18 offset:1024                // 00000000444C: DBC40400 5A000012
	ds_read_b64_tr_b8 a[92:93], v17 offset:19456               // 000000004454: DBC44C00 5C000011
	ds_read_b64_tr_b8 a[94:95], v18 offset:19456               // 00000000445C: DBC44C00 5E000012
	ds_read_b64_tr_b8 a[96:97], v19 offset:1024                // 000000004464: DBC40400 60000013
	ds_read_b64_tr_b8 a[98:99], v20 offset:1024                // 00000000446C: DBC40400 62000014
	ds_read_b64_tr_b8 a[100:101], v19 offset:19456             // 000000004474: DBC44C00 64000013
	ds_read_b64_tr_b8 a[102:103], v20 offset:19456             // 00000000447C: DBC44C00 66000014
	v_mul_f32_e32 v109, v21, v109                              // 000000004484: 0ADADB15
	v_mul_f32_e32 v110, v21, v110                              // 000000004488: 0ADCDD15
	v_mul_f32_e32 v111, v21, v111                              // 00000000448C: 0ADEDF15
	v_mul_f32_e32 v112, v21, v112                              // 000000004490: 0AE0E115
	v_mul_f32_e32 v113, v21, v113                              // 000000004494: 0AE2E315
	v_mul_f32_e32 v114, v21, v114                              // 000000004498: 0AE4E515
	v_mul_f32_e32 v115, v21, v115                              // 00000000449C: 0AE6E715
	v_mul_f32_e32 v116, v21, v116                              // 0000000044A0: 0AE8E915
	v_mul_f32_e32 v117, v21, v117                              // 0000000044A4: 0AEAEB15
	v_mul_f32_e32 v118, v21, v118                              // 0000000044A8: 0AECED15
	v_mul_f32_e32 v119, v21, v119                              // 0000000044AC: 0AEEEF15
	v_mul_f32_e32 v120, v21, v120                              // 0000000044B0: 0AF0F115
	v_mfma_f32_32x32x64_f8f6f4 v[60:75], a[104:111], a[32:39], v[60:75]// 0000000044B4: D3AE003C 1CF24168
	buffer_load_dwordx4 v217, s[20:23], 0 offen offset:384 lds // 0000000044BC: E05D1180 800500D9
	s_add_i32 m0, m0, 0x3c0                                    // 0000000044C4: 817CFF7C 000003C0
	v_mul_f32_e32 v121, v21, v121                              // 0000000044CC: 0AF2F315
	v_mul_f32_e32 v122, v21, v122                              // 0000000044D0: 0AF4F515
	v_mul_f32_e32 v123, v21, v123                              // 0000000044D4: 0AF6F715
	v_mul_f32_e32 v124, v21, v124                              // 0000000044D8: 0AF8F915
	v_mul_f32_e32 v125, v21, v125                              // 0000000044DC: 0AFAFB15
	v_mul_f32_e32 v126, v21, v126                              // 0000000044E0: 0AFCFD15
	v_mul_f32_e32 v127, v21, v127                              // 0000000044E4: 0AFEFF15
	v_mul_f32_e32 v128, v21, v128                              // 0000000044E8: 0B010115
	v_mul_f32_e32 v129, v21, v129                              // 0000000044EC: 0B030315
	v_mul_f32_e32 v130, v21, v130                              // 0000000044F0: 0B050515
	v_mul_f32_e32 v131, v21, v131                              // 0000000044F4: 0B070715
	v_mul_f32_e32 v132, v21, v132                              // 0000000044F8: 0B090915
	v_mfma_f32_32x32x64_f8f6f4 v[60:75], a[112:119], a[40:47], v[60:75]// 0000000044FC: D3AE003C 1CF25170
	s_waitcnt lgkmcnt(0)                                       // 000000004504: BF8CC07F
	ds_read_b64_tr_b8 a[104:105], v17 offset:2048              // 000000004508: DBC40800 68000011
	ds_read_b64_tr_b8 a[106:107], v18 offset:2048              // 000000004510: DBC40800 6A000012
	ds_read_b64_tr_b8 a[108:109], v17 offset:20480             // 000000004518: DBC45000 6C000011
	ds_read_b64_tr_b8 a[110:111], v18 offset:20480             // 000000004520: DBC45000 6E000012
	ds_read_b64_tr_b8 a[112:113], v19 offset:2048              // 000000004528: DBC40800 70000013
	ds_read_b64_tr_b8 a[114:115], v20 offset:2048              // 000000004530: DBC40800 72000014
	ds_read_b64_tr_b8 a[116:117], v19 offset:20480             // 000000004538: DBC45000 74000013
	ds_read_b64_tr_b8 a[118:119], v20 offset:20480             // 000000004540: DBC45000 76000014
	v_mul_f32_e32 v133, v21, v133                              // 000000004548: 0B0B0B15
	v_mul_f32_e32 v134, v21, v134                              // 00000000454C: 0B0D0D15
	v_mul_f32_e32 v135, v21, v135                              // 000000004550: 0B0F0F15
	v_mul_f32_e32 v136, v21, v136                              // 000000004554: 0B111115
	v_mul_f32_e32 v137, v21, v137                              // 000000004558: 0B131315
	v_mul_f32_e32 v138, v21, v138                              // 00000000455C: 0B151515
	v_mul_f32_e32 v139, v21, v139                              // 000000004560: 0B171715
	v_mfma_f32_32x32x64_f8f6f4 v[60:75], a[120:127], a[48:55], v[60:75]// 000000004564: D3AE003C 1CF26178
	buffer_load_dwordx4 v217, s[20:23], 0 offen offset:448 lds // 00000000456C: E05D11C0 800500D9
	s_add_i32 m0, m0, 0x3c0                                    // 000000004574: 817CFF7C 000003C0
	v_permlane32_swap_b32_e32 v44, v46                         // 00000000457C: 7E58B52E
	v_permlane32_swap_b32_e32 v45, v47                         // 000000004580: 7E5AB52F
	v_swap_b32 v45, v46                                        // 000000004584: 7E5AA32E
	v_permlane32_swap_b32_e32 v48, v50                         // 000000004588: 7E60B532
	v_permlane32_swap_b32_e32 v49, v51                         // 00000000458C: 7E62B533
	v_swap_b32 v49, v50                                        // 000000004590: 7E62A332
	v_mfma_f32_32x32x64_f8f6f4 v[60:75], a[128:135], a[56:63], v[60:75]// 000000004594: D3AE003C 1CF27180
	ds_read_b64_tr_b8 a[120:121], v17 offset:3072              // 00000000459C: DBC40C00 78000011
	ds_read_b64_tr_b8 a[122:123], v18 offset:3072              // 0000000045A4: DBC40C00 7A000012
	ds_read_b64_tr_b8 a[124:125], v17 offset:21504             // 0000000045AC: DBC45400 7C000011
	ds_read_b64_tr_b8 a[126:127], v18 offset:21504             // 0000000045B4: DBC45400 7E000012
	ds_read_b64_tr_b8 a[128:129], v19 offset:3072              // 0000000045BC: DBC40C00 80000013
	ds_read_b64_tr_b8 a[130:131], v20 offset:3072              // 0000000045C4: DBC40C00 82000014
	ds_read_b64_tr_b8 a[132:133], v19 offset:21504             // 0000000045CC: DBC45400 84000013
	ds_read_b64_tr_b8 a[134:135], v20 offset:21504             // 0000000045D4: DBC45400 86000014
	v_mov_b32_e32 v36, v21                                     // 0000000045DC: 7E480315
	v_mov_b32_e32 v37, v21                                     // 0000000045E0: 7E4A0315
	v_pk_mul_f32 v[140:141], v[36:37], v[140:141]              // 0000000045E4: D3B1408C 18031924
	v_pk_mul_f32 v[142:143], v[36:37], v[142:143]              // 0000000045EC: D3B1408E 18031D24
	v_pk_mul_f32 v[144:145], v[36:37], v[144:145]              // 0000000045F4: D3B14090 18032124
	v_pk_mul_f32 v[146:147], v[36:37], v[146:147]              // 0000000045FC: D3B14092 18032524
	v_pk_mul_f32 v[148:149], v[36:37], v[148:149]              // 000000004604: D3B14094 18032924
	v_pk_mul_f32 v[150:151], v[36:37], v[150:151]              // 00000000460C: D3B14096 18032D24
	v_pk_mul_f32 v[152:153], v[36:37], v[152:153]              // 000000004614: D3B14098 18033124
	v_pk_mul_f32 v[154:155], v[36:37], v[154:155]              // 00000000461C: D3B1409A 18033524
	v_pk_mul_f32 v[156:157], v[36:37], v[156:157]              // 000000004624: D3B1409C 18033924
	v_pk_mul_f32 v[158:159], v[36:37], v[158:159]              // 00000000462C: D3B1409E 18033D24
	v_pk_mul_f32 v[160:161], v[36:37], v[160:161]              // 000000004634: D3B140A0 18034124
	v_pk_mul_f32 v[162:163], v[36:37], v[162:163]              // 00000000463C: D3B140A2 18034524
	v_pk_mul_f32 v[164:165], v[36:37], v[164:165]              // 000000004644: D3B140A4 18034924
	v_pk_mul_f32 v[166:167], v[36:37], v[166:167]              // 00000000464C: D3B140A6 18034D24
	v_pk_mul_f32 v[168:169], v[36:37], v[168:169]              // 000000004654: D3B140A8 18035124
	v_pk_mul_f32 v[170:171], v[36:37], v[170:171]              // 00000000465C: D3B140AA 18035524
	v_pk_mul_f32 v[172:173], v[36:37], v[172:173]              // 000000004664: D3B140AC 18035924
	v_pk_mul_f32 v[174:175], v[36:37], v[174:175]              // 00000000466C: D3B140AE 18035D24
	v_pk_mul_f32 v[176:177], v[36:37], v[176:177]              // 000000004674: D3B140B0 18036124
	v_pk_mul_f32 v[178:179], v[36:37], v[178:179]              // 00000000467C: D3B140B2 18036524
	v_pk_mul_f32 v[180:181], v[36:37], v[180:181]              // 000000004684: D3B140B4 18036924
	v_pk_mul_f32 v[182:183], v[36:37], v[182:183]              // 00000000468C: D3B140B6 18036D24
	v_pk_mul_f32 v[184:185], v[36:37], v[184:185]              // 000000004694: D3B140B8 18037124
	v_pk_mul_f32 v[186:187], v[36:37], v[186:187]              // 00000000469C: D3B140BA 18037524
	v_pk_mul_f32 v[188:189], v[36:37], v[188:189]              // 0000000046A4: D3B140BC 18037924
	v_pk_mul_f32 v[190:191], v[36:37], v[190:191]              // 0000000046AC: D3B140BE 18037D24
	v_pk_mul_f32 v[192:193], v[36:37], v[192:193]              // 0000000046B4: D3B140C0 18038124
	v_pk_mul_f32 v[194:195], v[36:37], v[194:195]              // 0000000046BC: D3B140C2 18038524
	v_pk_mul_f32 v[196:197], v[36:37], v[196:197]              // 0000000046C4: D3B140C4 18038924
	v_pk_mul_f32 v[198:199], v[36:37], v[198:199]              // 0000000046CC: D3B140C6 18038D24
	v_pk_mul_f32 v[200:201], v[36:37], v[200:201]              // 0000000046D4: D3B140C8 18039124
	v_pk_mul_f32 v[202:203], v[36:37], v[202:203]              // 0000000046DC: D3B140CA 18039524
	v_mfma_f32_32x32x64_f8f6f4 v[60:75], a[136:143], a[64:71], v[60:75]// 0000000046E4: D3AE003C 1CF28188
	buffer_load_dwordx4 v217, s[20:23], 0 offen offset:512 lds // 0000000046EC: E05D1200 800500D9
	s_add_i32 m0, m0, 0x3c0                                    // 0000000046F4: 817CFF7C 000003C0
	s_addk_i32 s70, 0x1                                        // 0000000046FC: B7460001
	s_cmp_lt_i32 s70, s71                                      // 000000004700: BF044746
	s_cbranch_scc0 label_3174                                  // 000000004704: BF84039B
	v_mul_u32_u24_e64 v217, v32, s68                           // 000000004708: D10800D9 00008920
	v_add_u32_e32 v217, v217, v1                               // 000000004710: 69B203D9
	s_waitcnt vmcnt(10)                                        // 000000004714: BF8C0F7A
	s_barrier                                                  // 000000004718: BF8A0000
	s_waitcnt lgkmcnt(8)                                       // 00000000471C: BF8CC87F
	v_mfma_f32_32x32x64_f8f6f4 v[76:91], a[72:79], v[44:51], v[76:91]// 000000004720: D3AE004C 0D325948
	ds_read_b128 a[72:75], v24                                 // 000000004728: DBFE0000 48000018
	ds_read_b128 a[76:79], v25                                 // 000000004730: DBFE0000 4C000019
	v_mov_b32_e32 v213, v60                                    // 000000004738: 7FAA033C
	v_max3_f32 v213, v60, v61, v213                            // 00000000473C: D1D300D5 07567B3C
	v_max3_f32 v213, v62, v63, v213                            // 000000004744: D1D300D5 07567F3E
	v_max3_f32 v213, v64, v65, v213                            // 00000000474C: D1D300D5 07568340
	v_max3_f32 v213, v66, v67, v213                            // 000000004754: D1D300D5 07568742
	v_max3_f32 v213, v68, v69, v213                            // 00000000475C: D1D300D5 07568B44
	v_max3_f32 v213, v70, v71, v213                            // 000000004764: D1D300D5 07568F46
	v_max3_f32 v213, v72, v73, v213                            // 00000000476C: D1D300D5 07569348
	v_max3_f32 v213, v74, v75, v213                            // 000000004774: D1D300D5 0756974A
	v_mov_b32_e32 v35, v213                                    // 00000000477C: 7E4603D5
	v_mov_b32_e32 v36, v213                                    // 000000004780: 7E4803D5
	s_nop 0                                                    // 000000004784: BF800000
	v_mfma_f32_32x32x64_f8f6f4 v[92:107], a[80:87], v[44:51], v[92:107]// 000000004788: D3AE005C 0D725950
	v_permlane32_swap_b32_e32 v35, v36                         // 000000004790: 7E46B524
	v_max3_f32 v213, v35, v36, v213                            // 000000004794: D1D300D5 07564923
	ds_write_b32 v41, v213                                     // 00000000479C: D81A0000 0000D529
	s_mov_b32 s56, 0x1d000                                     // 0000000047A4: BEB800FF 0001D000
	s_mul_i32 s57, s7, 0x2400                                  // 0000000047AC: 9239FF07 00002400
	s_add_u32 m0, s56, s57                                     // 0000000047B4: 807C3938
	buffer_load_dwordx4 v217, s[20:23], 0 offen lds            // 0000000047B8: E05D1000 800500D9
	s_add_i32 m0, m0, 0x3c0                                    // 0000000047C0: 817CFF7C 000003C0
	buffer_load_dwordx4 v217, s[20:23], 0 offen offset:64 lds  // 0000000047C8: E05D1040 800500D9
	s_add_i32 m0, m0, 0x3c0                                    // 0000000047D0: 817CFF7C 000003C0
	s_waitcnt lgkmcnt(0)                                       // 0000000047D8: BF8CC07F
	s_barrier                                                  // 0000000047DC: BF8A0000
	v_mfma_f32_32x32x64_f8f6f4 v[108:123], a[88:95], v[44:51], v[108:123]// 0000000047E0: D3AE006C 0DB25958
	ds_read_b32 v35, v40                                       // 0000000047E8: D86C0000 23000028
	ds_read_b32 v36, v40 offset:256                            // 0000000047F0: D86C0100 24000028
	s_waitcnt lgkmcnt(0)                                       // 0000000047F8: BF8CC07F
	v_max3_f32 v213, v35, v36, v213                            // 0000000047FC: D1D300D5 07564923
	v_mov_b32_e32 v35, 0xff800000                              // 000000004804: 7E4602FF FF800000
	v_cmp_eq_u32_e64 s[36:37], v35, v2                         // 00000000480C: D0CA0024 00020523
	v_max_f32_e32 v216, v213, v2                               // 000000004814: 17B005D5
	v_sub_f32_e32 v21, v2, v216                                // 000000004818: 042BB102
	v_cndmask_b32_e64 v21, v21, 0, s[36:37]                    // 00000000481C: D1000015 00910115
	v_mfma_f32_32x32x64_f8f6f4 v[124:139], a[96:103], v[44:51], v[124:139]// 000000004824: D3AE007C 0DF25960
	buffer_load_dwordx4 v217, s[20:23], 0 offen offset:128 lds // 00000000482C: E05D1080 800500D9
	s_add_i32 m0, m0, 0x3c0                                    // 000000004834: 817CFF7C 000003C0
	v_mov_b32_e32 v2, v216                                     // 00000000483C: 7E0403D8
	v_mul_f32_e32 v212, s5, v216                               // 000000004840: 0BA9B005
	v_mul_f32_e32 v21, s5, v21                                 // 000000004844: 0A2A2A05
	v_exp_f32_e32 v21, v21                                     // 000000004848: 7E2A4115
	v_fma_f32 v60, v60, s5, -v212                              // 00000000484C: D1CB003C 87500B3C
	v_fma_f32 v61, v61, s5, -v212                              // 000000004854: D1CB003D 87500B3D
	v_fma_f32 v62, v62, s5, -v212                              // 00000000485C: D1CB003E 87500B3E
	v_fma_f32 v63, v63, s5, -v212                              // 000000004864: D1CB003F 87500B3F
	v_fma_f32 v64, v64, s5, -v212                              // 00000000486C: D1CB0040 87500B40
	v_fma_f32 v65, v65, s5, -v212                              // 000000004874: D1CB0041 87500B41
	v_fma_f32 v66, v66, s5, -v212                              // 00000000487C: D1CB0042 87500B42
	v_fma_f32 v67, v67, s5, -v212                              // 000000004884: D1CB0043 87500B43
	v_fma_f32 v68, v68, s5, -v212                              // 00000000488C: D1CB0044 87500B44
	v_mfma_f32_32x32x64_f8f6f4 v[140:155], a[104:111], v[44:51], v[140:155]// 000000004894: D3AE008C 0E325968
	ds_read_b128 a[80:83], v24 offset:1024                     // 00000000489C: DBFE0400 50000018
	ds_read_b128 a[84:87], v25 offset:1024                     // 0000000048A4: DBFE0400 54000019
	ds_read_b128 a[88:91], v24 offset:2048                     // 0000000048AC: DBFE0800 58000018
	ds_read_b128 a[92:95], v25 offset:2048                     // 0000000048B4: DBFE0800 5C000019
	ds_read_b128 a[96:99], v24 offset:3072                     // 0000000048BC: DBFE0C00 60000018
	ds_read_b128 a[100:103], v25 offset:3072                   // 0000000048C4: DBFE0C00 64000019
	v_fma_f32 v69, v69, s5, -v212                              // 0000000048CC: D1CB0045 87500B45
	v_fma_f32 v70, v70, s5, -v212                              // 0000000048D4: D1CB0046 87500B46
	v_fma_f32 v71, v71, s5, -v212                              // 0000000048DC: D1CB0047 87500B47
	v_fma_f32 v72, v72, s5, -v212                              // 0000000048E4: D1CB0048 87500B48
	v_fma_f32 v73, v73, s5, -v212                              // 0000000048EC: D1CB0049 87500B49
	v_fma_f32 v74, v74, s5, -v212                              // 0000000048F4: D1CB004A 87500B4A
	v_fma_f32 v75, v75, s5, -v212                              // 0000000048FC: D1CB004B 87500B4B
	v_exp_f32_e32 v60, v60                                     // 000000004904: 7E78413C
	v_exp_f32_e32 v61, v61                                     // 000000004908: 7E7A413D
	v_mfma_f32_32x32x64_f8f6f4 v[156:171], a[112:119], v[44:51], v[156:171]// 00000000490C: D3AE009C 0E725970
	buffer_load_dwordx4 v217, s[20:23], 0 offen offset:192 lds // 000000004914: E05D10C0 800500D9
	s_add_i32 m0, m0, 0x3c0                                    // 00000000491C: 817CFF7C 000003C0
	v_exp_f32_e32 v62, v62                                     // 000000004924: 7E7C413E
	v_exp_f32_e32 v63, v63                                     // 000000004928: 7E7E413F
	v_exp_f32_e32 v64, v64                                     // 00000000492C: 7E804140
	v_exp_f32_e32 v65, v65                                     // 000000004930: 7E824141
	v_exp_f32_e32 v66, v66                                     // 000000004934: 7E844142
	v_exp_f32_e32 v67, v67                                     // 000000004938: 7E864143
	v_exp_f32_e32 v68, v68                                     // 00000000493C: 7E884144
	v_mfma_f32_32x32x64_f8f6f4 v[172:187], a[120:127], v[44:51], v[172:187]// 000000004940: D3AE00AC 0EB25978
	ds_read_b128 a[104:107], v24 offset:4096                   // 000000004948: DBFE1000 68000018
	ds_read_b128 a[108:111], v25 offset:4096                   // 000000004950: DBFE1000 6C000019
	ds_read_b128 a[112:115], v24 offset:5120                   // 000000004958: DBFE1400 70000018
	ds_read_b128 a[116:119], v25 offset:5120                   // 000000004960: DBFE1400 74000019
	ds_read_b128 a[120:123], v24 offset:6144                   // 000000004968: DBFE1800 78000018
	ds_read_b128 a[124:127], v25 offset:6144                   // 000000004970: DBFE1800 7C000019
	v_exp_f32_e32 v69, v69                                     // 000000004978: 7E8A4145
	v_exp_f32_e32 v70, v70                                     // 00000000497C: 7E8C4146
	v_exp_f32_e32 v71, v71                                     // 000000004980: 7E8E4147
	v_exp_f32_e32 v72, v72                                     // 000000004984: 7E904148
	v_exp_f32_e32 v73, v73                                     // 000000004988: 7E924149
	v_mfma_f32_32x32x64_f8f6f4 v[188:203], a[128:135], v[44:51], v[188:203]// 00000000498C: D3AE00BC 0EF25980
	ds_read_b128 a[128:131], v24 offset:7168                   // 000000004994: DBFE1C00 80000018
	ds_read_b128 a[132:135], v25 offset:7168                   // 00000000499C: DBFE1C00 84000019
	ds_read_b128 a[136:139], v24 offset:8192                   // 0000000049A4: DBFE2000 88000018
	ds_read_b128 a[140:143], v25 offset:8192                   // 0000000049AC: DBFE2000 8C000019
	v_exp_f32_e32 v74, v74                                     // 0000000049B4: 7E94414A
	v_exp_f32_e32 v75, v75                                     // 0000000049B8: 7E96414B
	v_mul_f32_e32 v4, v21, v4                                  // 0000000049BC: 0A080915
	v_mov_b32_e32 v35, v60                                     // 0000000049C0: 7E46033C
	v_add_f32_e32 v35, v61, v35                                // 0000000049C4: 0246473D
	v_add_f32_e32 v35, v62, v35                                // 0000000049C8: 0246473E
	v_add_f32_e32 v35, v63, v35                                // 0000000049CC: 0246473F
	v_add_f32_e32 v35, v64, v35                                // 0000000049D0: 02464740
	v_add_f32_e32 v35, v65, v35                                // 0000000049D4: 02464741
	v_add_f32_e32 v35, v66, v35                                // 0000000049D8: 02464742
	v_add_f32_e32 v35, v67, v35                                // 0000000049DC: 02464743
	v_add_f32_e32 v35, v68, v35                                // 0000000049E0: 02464744
	v_add_f32_e32 v35, v69, v35                                // 0000000049E4: 02464745
	v_add_f32_e32 v35, v70, v35                                // 0000000049E8: 02464746
	v_add_f32_e32 v35, v71, v35                                // 0000000049EC: 02464747
	v_add_f32_e32 v35, v72, v35                                // 0000000049F0: 02464748
	v_add_f32_e32 v35, v73, v35                                // 0000000049F4: 02464749
	v_add_f32_e32 v35, v74, v35                                // 0000000049F8: 0246474A
	v_add_f32_e32 v35, v75, v35                                // 0000000049FC: 0246474B
	v_add_f32_e32 v4, v35, v4                                  // 000000004A00: 02080923
	v_cvt_pk_fp8_f32 v60, v60, v61                             // 000000004A04: D2A2003C 00027B3C
	v_cvt_pk_fp8_f32 v60, v62, v63 op_sel:[0,0,1]              // 000000004A0C: D2A2403C 00027F3E
	v_cvt_pk_fp8_f32 v61, v64, v65                             // 000000004A14: D2A2003D 00028340
	v_cvt_pk_fp8_f32 v61, v66, v67 op_sel:[0,0,1]              // 000000004A1C: D2A2403D 00028742
	v_cvt_pk_fp8_f32 v62, v68, v69                             // 000000004A24: D2A2003E 00028B44
	v_cvt_pk_fp8_f32 v62, v70, v71 op_sel:[0,0,1]              // 000000004A2C: D2A2403E 00028F46
	v_cvt_pk_fp8_f32 v63, v72, v73                             // 000000004A34: D2A2003F 00029348
	v_cvt_pk_fp8_f32 v63, v74, v75 op_sel:[0,0,1]              // 000000004A3C: D2A2403F 0002974A
	s_waitcnt lgkmcnt(8)                                       // 000000004A44: BF8CC87F
	v_mfma_f32_32x32x64_f8f6f4 v[44:59], a[72:79], a[0:7], 0   // 000000004A48: D3AE002C 1A020148
	ds_write_b128 v43, v[60:63] offset:1024                    // 000000004A50: D9BE0400 00003C2B
	buffer_load_dword v30, v34, s[24:27], 0 offen              // 000000004A58: E0501000 80061E22
	buffer_load_dwordx4 v217, s[20:23], 0 offen offset:256 lds // 000000004A60: E05D1100 800500D9
	s_add_i32 m0, m0, 0x3c0                                    // 000000004A68: 817CFF7C 000003C0
	v_mul_f32_e32 v76, v21, v76                                // 000000004A70: 0A989915
	v_mul_f32_e32 v77, v21, v77                                // 000000004A74: 0A9A9B15
	v_mul_f32_e32 v78, v21, v78                                // 000000004A78: 0A9C9D15
	v_mul_f32_e32 v79, v21, v79                                // 000000004A7C: 0A9E9F15
	v_mul_f32_e32 v80, v21, v80                                // 000000004A80: 0AA0A115
	v_mul_f32_e32 v81, v21, v81                                // 000000004A84: 0AA2A315
	v_mul_f32_e32 v82, v21, v82                                // 000000004A88: 0AA4A515
	v_mul_f32_e32 v83, v21, v83                                // 000000004A8C: 0AA6A715
	v_mul_f32_e32 v84, v21, v84                                // 000000004A90: 0AA8A915
	v_mfma_f32_32x32x64_f8f6f4 v[44:59], a[80:87], a[8:15], v[44:59]// 000000004A94: D3AE002C 1CB21150
	ds_read_b64_tr_b8 a[72:73], v5                             // 000000004A9C: DBC40000 48000005
	ds_read_b64_tr_b8 a[74:75], v6                             // 000000004AA4: DBC40000 4A000006
	ds_read_b64_tr_b8 a[76:77], v5 offset:18432                // 000000004AAC: DBC44800 4C000005
	ds_read_b64_tr_b8 a[78:79], v6 offset:18432                // 000000004AB4: DBC44800 4E000006
	ds_read_b64_tr_b8 a[80:81], v7                             // 000000004ABC: DBC40000 50000007
	ds_read_b64_tr_b8 a[82:83], v8                             // 000000004AC4: DBC40000 52000008
	ds_read_b64_tr_b8 a[84:85], v7 offset:18432                // 000000004ACC: DBC44800 54000007
	ds_read_b64_tr_b8 a[86:87], v8 offset:18432                // 000000004AD4: DBC44800 56000008
	v_mul_f32_e32 v85, v21, v85                                // 000000004ADC: 0AAAAB15
	v_mul_f32_e32 v86, v21, v86                                // 000000004AE0: 0AACAD15
	v_mul_f32_e32 v87, v21, v87                                // 000000004AE4: 0AAEAF15
	v_mul_f32_e32 v88, v21, v88                                // 000000004AE8: 0AB0B115
	v_mul_f32_e32 v89, v21, v89                                // 000000004AEC: 0AB2B315
	v_mul_f32_e32 v90, v21, v90                                // 000000004AF0: 0AB4B515
	v_mul_f32_e32 v91, v21, v91                                // 000000004AF4: 0AB6B715
	v_mul_f32_e32 v92, v21, v92                                // 000000004AF8: 0AB8B915
	v_mul_f32_e32 v93, v21, v93                                // 000000004AFC: 0ABABB15
	v_mul_f32_e32 v94, v21, v94                                // 000000004B00: 0ABCBD15
	v_mul_f32_e32 v95, v21, v95                                // 000000004B04: 0ABEBF15
	v_mul_f32_e32 v96, v21, v96                                // 000000004B08: 0AC0C115
	s_waitcnt lgkmcnt(0)                                       // 000000004B0C: BF8CC07F
	s_barrier                                                  // 000000004B10: BF8A0000
	v_mfma_f32_32x32x64_f8f6f4 v[44:59], a[88:95], a[16:23], v[44:59]// 000000004B14: D3AE002C 1CB22158
	ds_read_b128 v[60:63], v42 offset:1024                     // 000000004B1C: D9FE0400 3C00002A
	ds_read_b128 v[64:67], v42 offset:2048                     // 000000004B24: D9FE0800 4000002A
	buffer_load_dwordx4 v217, s[20:23], 0 offen offset:320 lds // 000000004B2C: E05D1140 800500D9
	s_add_i32 m0, m0, 0x3c0                                    // 000000004B34: 817CFF7C 000003C0
	v_mul_f32_e32 v97, v21, v97                                // 000000004B3C: 0AC2C315
	v_mul_f32_e32 v98, v21, v98                                // 000000004B40: 0AC4C515
	v_mul_f32_e32 v99, v21, v99                                // 000000004B44: 0AC6C715
	v_mul_f32_e32 v100, v21, v100                              // 000000004B48: 0AC8C915
	v_mul_f32_e32 v101, v21, v101                              // 000000004B4C: 0ACACB15
	v_mul_f32_e32 v102, v21, v102                              // 000000004B50: 0ACCCD15
	v_mul_f32_e32 v103, v21, v103                              // 000000004B54: 0ACECF15
	v_mul_f32_e32 v104, v21, v104                              // 000000004B58: 0AD0D115
	v_mul_f32_e32 v105, v21, v105                              // 000000004B5C: 0AD2D315
	v_mul_f32_e32 v106, v21, v106                              // 000000004B60: 0AD4D515
	v_mul_f32_e32 v107, v21, v107                              // 000000004B64: 0AD6D715
	v_mul_f32_e32 v108, v21, v108                              // 000000004B68: 0AD8D915
	v_add_u32_e32 v34, s73, v34                                // 000000004B6C: 68444449
	v_mfma_f32_32x32x64_f8f6f4 v[44:59], a[96:103], a[24:31], v[44:59]// 000000004B70: D3AE002C 1CB23160
	ds_read_b64_tr_b8 a[88:89], v5 offset:1024                 // 000000004B78: DBC40400 58000005
	ds_read_b64_tr_b8 a[90:91], v6 offset:1024                 // 000000004B80: DBC40400 5A000006
	ds_read_b64_tr_b8 a[92:93], v5 offset:19456                // 000000004B88: DBC44C00 5C000005
	ds_read_b64_tr_b8 a[94:95], v6 offset:19456                // 000000004B90: DBC44C00 5E000006
	ds_read_b64_tr_b8 a[96:97], v7 offset:1024                 // 000000004B98: DBC40400 60000007
	ds_read_b64_tr_b8 a[98:99], v8 offset:1024                 // 000000004BA0: DBC40400 62000008
	ds_read_b64_tr_b8 a[100:101], v7 offset:19456              // 000000004BA8: DBC44C00 64000007
	ds_read_b64_tr_b8 a[102:103], v8 offset:19456              // 000000004BB0: DBC44C00 66000008
	v_mul_f32_e32 v109, v21, v109                              // 000000004BB8: 0ADADB15
	v_mul_f32_e32 v110, v21, v110                              // 000000004BBC: 0ADCDD15
	v_mul_f32_e32 v111, v21, v111                              // 000000004BC0: 0ADEDF15
	v_mul_f32_e32 v112, v21, v112                              // 000000004BC4: 0AE0E115
	v_mul_f32_e32 v113, v21, v113                              // 000000004BC8: 0AE2E315
	v_mul_f32_e32 v114, v21, v114                              // 000000004BCC: 0AE4E515
	v_mul_f32_e32 v115, v21, v115                              // 000000004BD0: 0AE6E715
	v_mul_f32_e32 v116, v21, v116                              // 000000004BD4: 0AE8E915
	v_mul_f32_e32 v117, v21, v117                              // 000000004BD8: 0AEAEB15
	v_mul_f32_e32 v118, v21, v118                              // 000000004BDC: 0AECED15
	v_mul_f32_e32 v119, v21, v119                              // 000000004BE0: 0AEEEF15
	v_mul_f32_e32 v120, v21, v120                              // 000000004BE4: 0AF0F115
	v_mfma_f32_32x32x64_f8f6f4 v[44:59], a[104:111], a[32:39], v[44:59]// 000000004BE8: D3AE002C 1CB24168
	buffer_load_dwordx4 v217, s[20:23], 0 offen offset:384 lds // 000000004BF0: E05D1180 800500D9
	s_add_i32 m0, m0, 0x3c0                                    // 000000004BF8: 817CFF7C 000003C0
	v_mul_f32_e32 v121, v21, v121                              // 000000004C00: 0AF2F315
	v_mul_f32_e32 v122, v21, v122                              // 000000004C04: 0AF4F515
	v_mul_f32_e32 v123, v21, v123                              // 000000004C08: 0AF6F715
	v_mul_f32_e32 v124, v21, v124                              // 000000004C0C: 0AF8F915
	v_mul_f32_e32 v125, v21, v125                              // 000000004C10: 0AFAFB15
	v_mul_f32_e32 v126, v21, v126                              // 000000004C14: 0AFCFD15
	v_mul_f32_e32 v127, v21, v127                              // 000000004C18: 0AFEFF15
	v_mul_f32_e32 v128, v21, v128                              // 000000004C1C: 0B010115
	v_mul_f32_e32 v129, v21, v129                              // 000000004C20: 0B030315
	v_mul_f32_e32 v130, v21, v130                              // 000000004C24: 0B050515
	v_mul_f32_e32 v131, v21, v131                              // 000000004C28: 0B070715
	v_mul_f32_e32 v132, v21, v132                              // 000000004C2C: 0B090915
	v_mfma_f32_32x32x64_f8f6f4 v[44:59], a[112:119], a[40:47], v[44:59]// 000000004C30: D3AE002C 1CB25170
	s_waitcnt lgkmcnt(0)                                       // 000000004C38: BF8CC07F
	ds_read_b64_tr_b8 a[104:105], v5 offset:2048               // 000000004C3C: DBC40800 68000005
	ds_read_b64_tr_b8 a[106:107], v6 offset:2048               // 000000004C44: DBC40800 6A000006
	ds_read_b64_tr_b8 a[108:109], v5 offset:20480              // 000000004C4C: DBC45000 6C000005
	ds_read_b64_tr_b8 a[110:111], v6 offset:20480              // 000000004C54: DBC45000 6E000006
	ds_read_b64_tr_b8 a[112:113], v7 offset:2048               // 000000004C5C: DBC40800 70000007
	ds_read_b64_tr_b8 a[114:115], v8 offset:2048               // 000000004C64: DBC40800 72000008
	ds_read_b64_tr_b8 a[116:117], v7 offset:20480              // 000000004C6C: DBC45000 74000007
	ds_read_b64_tr_b8 a[118:119], v8 offset:20480              // 000000004C74: DBC45000 76000008
	v_mul_f32_e32 v133, v21, v133                              // 000000004C7C: 0B0B0B15
	v_mul_f32_e32 v134, v21, v134                              // 000000004C80: 0B0D0D15
	v_mul_f32_e32 v135, v21, v135                              // 000000004C84: 0B0F0F15
	v_mul_f32_e32 v136, v21, v136                              // 000000004C88: 0B111115
	v_mul_f32_e32 v137, v21, v137                              // 000000004C8C: 0B131315
	v_mul_f32_e32 v138, v21, v138                              // 000000004C90: 0B151515
	v_mul_f32_e32 v139, v21, v139                              // 000000004C94: 0B171715
	v_mfma_f32_32x32x64_f8f6f4 v[44:59], a[120:127], a[48:55], v[44:59]// 000000004C98: D3AE002C 1CB26178
	buffer_load_dwordx4 v217, s[20:23], 0 offen offset:448 lds // 000000004CA0: E05D11C0 800500D9
	s_add_i32 m0, m0, 0x3c0                                    // 000000004CA8: 817CFF7C 000003C0
	v_permlane32_swap_b32_e32 v60, v62                         // 000000004CB0: 7E78B53E
	v_permlane32_swap_b32_e32 v61, v63                         // 000000004CB4: 7E7AB53F
	v_swap_b32 v61, v62                                        // 000000004CB8: 7E7AA33E
	v_permlane32_swap_b32_e32 v64, v66                         // 000000004CBC: 7E80B542
	v_permlane32_swap_b32_e32 v65, v67                         // 000000004CC0: 7E82B543
	v_swap_b32 v65, v66                                        // 000000004CC4: 7E82A342
	v_mfma_f32_32x32x64_f8f6f4 v[44:59], a[128:135], a[56:63], v[44:59]// 000000004CC8: D3AE002C 1CB27180
	ds_read_b64_tr_b8 a[120:121], v5 offset:3072               // 000000004CD0: DBC40C00 78000005
	ds_read_b64_tr_b8 a[122:123], v6 offset:3072               // 000000004CD8: DBC40C00 7A000006
	ds_read_b64_tr_b8 a[124:125], v5 offset:21504              // 000000004CE0: DBC45400 7C000005
	ds_read_b64_tr_b8 a[126:127], v6 offset:21504              // 000000004CE8: DBC45400 7E000006
	ds_read_b64_tr_b8 a[128:129], v7 offset:3072               // 000000004CF0: DBC40C00 80000007
	ds_read_b64_tr_b8 a[130:131], v8 offset:3072               // 000000004CF8: DBC40C00 82000008
	ds_read_b64_tr_b8 a[132:133], v7 offset:21504              // 000000004D00: DBC45400 84000007
	ds_read_b64_tr_b8 a[134:135], v8 offset:21504              // 000000004D08: DBC45400 86000008
	v_mov_b32_e32 v36, v21                                     // 000000004D10: 7E480315
	v_mov_b32_e32 v37, v21                                     // 000000004D14: 7E4A0315
	v_pk_mul_f32 v[140:141], v[36:37], v[140:141]              // 000000004D18: D3B1408C 18031924
	v_pk_mul_f32 v[142:143], v[36:37], v[142:143]              // 000000004D20: D3B1408E 18031D24
	v_pk_mul_f32 v[144:145], v[36:37], v[144:145]              // 000000004D28: D3B14090 18032124
	v_pk_mul_f32 v[146:147], v[36:37], v[146:147]              // 000000004D30: D3B14092 18032524
	v_pk_mul_f32 v[148:149], v[36:37], v[148:149]              // 000000004D38: D3B14094 18032924
	v_pk_mul_f32 v[150:151], v[36:37], v[150:151]              // 000000004D40: D3B14096 18032D24
	v_pk_mul_f32 v[152:153], v[36:37], v[152:153]              // 000000004D48: D3B14098 18033124
	v_pk_mul_f32 v[154:155], v[36:37], v[154:155]              // 000000004D50: D3B1409A 18033524
	v_pk_mul_f32 v[156:157], v[36:37], v[156:157]              // 000000004D58: D3B1409C 18033924
	v_pk_mul_f32 v[158:159], v[36:37], v[158:159]              // 000000004D60: D3B1409E 18033D24
	v_pk_mul_f32 v[160:161], v[36:37], v[160:161]              // 000000004D68: D3B140A0 18034124
	v_pk_mul_f32 v[162:163], v[36:37], v[162:163]              // 000000004D70: D3B140A2 18034524
	v_pk_mul_f32 v[164:165], v[36:37], v[164:165]              // 000000004D78: D3B140A4 18034924
	v_pk_mul_f32 v[166:167], v[36:37], v[166:167]              // 000000004D80: D3B140A6 18034D24
	v_pk_mul_f32 v[168:169], v[36:37], v[168:169]              // 000000004D88: D3B140A8 18035124
	v_pk_mul_f32 v[170:171], v[36:37], v[170:171]              // 000000004D90: D3B140AA 18035524
	v_pk_mul_f32 v[172:173], v[36:37], v[172:173]              // 000000004D98: D3B140AC 18035924
	v_pk_mul_f32 v[174:175], v[36:37], v[174:175]              // 000000004DA0: D3B140AE 18035D24
	v_pk_mul_f32 v[176:177], v[36:37], v[176:177]              // 000000004DA8: D3B140B0 18036124
	v_pk_mul_f32 v[178:179], v[36:37], v[178:179]              // 000000004DB0: D3B140B2 18036524
	v_pk_mul_f32 v[180:181], v[36:37], v[180:181]              // 000000004DB8: D3B140B4 18036924
	v_pk_mul_f32 v[182:183], v[36:37], v[182:183]              // 000000004DC0: D3B140B6 18036D24
	v_pk_mul_f32 v[184:185], v[36:37], v[184:185]              // 000000004DC8: D3B140B8 18037124
	v_pk_mul_f32 v[186:187], v[36:37], v[186:187]              // 000000004DD0: D3B140BA 18037524
	v_pk_mul_f32 v[188:189], v[36:37], v[188:189]              // 000000004DD8: D3B140BC 18037924
	v_pk_mul_f32 v[190:191], v[36:37], v[190:191]              // 000000004DE0: D3B140BE 18037D24
	v_pk_mul_f32 v[192:193], v[36:37], v[192:193]              // 000000004DE8: D3B140C0 18038124
	v_pk_mul_f32 v[194:195], v[36:37], v[194:195]              // 000000004DF0: D3B140C2 18038524
	v_pk_mul_f32 v[196:197], v[36:37], v[196:197]              // 000000004DF8: D3B140C4 18038924
	v_pk_mul_f32 v[198:199], v[36:37], v[198:199]              // 000000004E00: D3B140C6 18038D24
	v_pk_mul_f32 v[200:201], v[36:37], v[200:201]              // 000000004E08: D3B140C8 18039124
	v_pk_mul_f32 v[202:203], v[36:37], v[202:203]              // 000000004E10: D3B140CA 18039524
	v_mfma_f32_32x32x64_f8f6f4 v[44:59], a[136:143], a[64:71], v[44:59]// 000000004E18: D3AE002C 1CB28188
	buffer_load_dwordx4 v217, s[20:23], 0 offen offset:512 lds // 000000004E20: E05D1200 800500D9
	s_add_i32 m0, m0, 0x3c0                                    // 000000004E28: 817CFF7C 000003C0
	s_addk_i32 s70, 0x1                                        // 000000004E30: B7460001
	s_cmp_lt_i32 s70, s71                                      // 000000004E34: BF044746
	s_cbranch_scc0 label_3174                                  // 000000004E38: BF8401CE
	v_mul_u32_u24_e64 v217, v33, s68                           // 000000004E3C: D10800D9 00008921
	v_add_u32_e32 v217, v217, v1                               // 000000004E44: 69B203D9
	s_waitcnt vmcnt(10)                                        // 000000004E48: BF8C0F7A
	s_barrier                                                  // 000000004E4C: BF8A0000
	s_waitcnt lgkmcnt(8)                                       // 000000004E50: BF8CC87F
	v_mfma_f32_32x32x64_f8f6f4 v[76:91], a[72:79], v[60:67], v[76:91]// 000000004E54: D3AE004C 0D327948
	ds_read_b128 a[72:75], v26                                 // 000000004E5C: DBFE0000 4800001A
	ds_read_b128 a[76:79], v27                                 // 000000004E64: DBFE0000 4C00001B
	v_mov_b32_e32 v213, v44                                    // 000000004E6C: 7FAA032C
	v_max3_f32 v213, v44, v45, v213                            // 000000004E70: D1D300D5 07565B2C
	v_max3_f32 v213, v46, v47, v213                            // 000000004E78: D1D300D5 07565F2E
	v_max3_f32 v213, v48, v49, v213                            // 000000004E80: D1D300D5 07566330
	v_max3_f32 v213, v50, v51, v213                            // 000000004E88: D1D300D5 07566732
	v_max3_f32 v213, v52, v53, v213                            // 000000004E90: D1D300D5 07566B34
	v_max3_f32 v213, v54, v55, v213                            // 000000004E98: D1D300D5 07566F36
	v_max3_f32 v213, v56, v57, v213                            // 000000004EA0: D1D300D5 07567338
	v_max3_f32 v213, v58, v59, v213                            // 000000004EA8: D1D300D5 0756773A
	v_mov_b32_e32 v35, v213                                    // 000000004EB0: 7E4603D5
	v_mov_b32_e32 v36, v213                                    // 000000004EB4: 7E4803D5
	s_nop 0                                                    // 000000004EB8: BF800000
	v_mfma_f32_32x32x64_f8f6f4 v[92:107], a[80:87], v[60:67], v[92:107]// 000000004EBC: D3AE005C 0D727950
	v_permlane32_swap_b32_e32 v35, v36                         // 000000004EC4: 7E46B524
	v_max3_f32 v213, v35, v36, v213                            // 000000004EC8: D1D300D5 07564923
	ds_write_b32 v41, v213                                     // 000000004ED0: D81A0000 0000D529
	s_mov_b32 s56, 0x2000                                      // 000000004ED8: BEB800FF 00002000
	s_mul_i32 s57, s7, 0x2400                                  // 000000004EE0: 9239FF07 00002400
	s_add_u32 m0, s56, s57                                     // 000000004EE8: 807C3938
	buffer_load_dwordx4 v217, s[20:23], 0 offen lds            // 000000004EEC: E05D1000 800500D9
	s_add_i32 m0, m0, 0x3c0                                    // 000000004EF4: 817CFF7C 000003C0
	buffer_load_dwordx4 v217, s[20:23], 0 offen offset:64 lds  // 000000004EFC: E05D1040 800500D9
	s_add_i32 m0, m0, 0x3c0                                    // 000000004F04: 817CFF7C 000003C0
	s_waitcnt lgkmcnt(0)                                       // 000000004F0C: BF8CC07F
	s_barrier                                                  // 000000004F10: BF8A0000
	v_mfma_f32_32x32x64_f8f6f4 v[108:123], a[88:95], v[60:67], v[108:123]// 000000004F14: D3AE006C 0DB27958
	ds_read_b32 v35, v40                                       // 000000004F1C: D86C0000 23000028
	ds_read_b32 v36, v40 offset:256                            // 000000004F24: D86C0100 24000028
	s_waitcnt lgkmcnt(0)                                       // 000000004F2C: BF8CC07F
	v_max3_f32 v213, v35, v36, v213                            // 000000004F30: D1D300D5 07564923
	v_mov_b32_e32 v35, 0xff800000                              // 000000004F38: 7E4602FF FF800000
	v_cmp_eq_u32_e64 s[36:37], v35, v2                         // 000000004F40: D0CA0024 00020523
	v_max_f32_e32 v216, v213, v2                               // 000000004F48: 17B005D5
	v_sub_f32_e32 v21, v2, v216                                // 000000004F4C: 042BB102
	v_cndmask_b32_e64 v21, v21, 0, s[36:37]                    // 000000004F50: D1000015 00910115
	v_mfma_f32_32x32x64_f8f6f4 v[124:139], a[96:103], v[60:67], v[124:139]// 000000004F58: D3AE007C 0DF27960
	buffer_load_dwordx4 v217, s[20:23], 0 offen offset:128 lds // 000000004F60: E05D1080 800500D9
	s_add_i32 m0, m0, 0x3c0                                    // 000000004F68: 817CFF7C 000003C0
	v_mov_b32_e32 v2, v216                                     // 000000004F70: 7E0403D8
	v_mul_f32_e32 v212, s5, v216                               // 000000004F74: 0BA9B005
	v_mul_f32_e32 v21, s5, v21                                 // 000000004F78: 0A2A2A05
	v_exp_f32_e32 v21, v21                                     // 000000004F7C: 7E2A4115
	v_fma_f32 v44, v44, s5, -v212                              // 000000004F80: D1CB002C 87500B2C
	v_fma_f32 v45, v45, s5, -v212                              // 000000004F88: D1CB002D 87500B2D
	v_fma_f32 v46, v46, s5, -v212                              // 000000004F90: D1CB002E 87500B2E
	v_fma_f32 v47, v47, s5, -v212                              // 000000004F98: D1CB002F 87500B2F
	v_fma_f32 v48, v48, s5, -v212                              // 000000004FA0: D1CB0030 87500B30
	v_fma_f32 v49, v49, s5, -v212                              // 000000004FA8: D1CB0031 87500B31
	v_fma_f32 v50, v50, s5, -v212                              // 000000004FB0: D1CB0032 87500B32
	v_fma_f32 v51, v51, s5, -v212                              // 000000004FB8: D1CB0033 87500B33
	v_fma_f32 v52, v52, s5, -v212                              // 000000004FC0: D1CB0034 87500B34
	v_mfma_f32_32x32x64_f8f6f4 v[140:155], a[104:111], v[60:67], v[140:155]// 000000004FC8: D3AE008C 0E327968
	ds_read_b128 a[80:83], v26 offset:1024                     // 000000004FD0: DBFE0400 5000001A
	ds_read_b128 a[84:87], v27 offset:1024                     // 000000004FD8: DBFE0400 5400001B
	ds_read_b128 a[88:91], v26 offset:2048                     // 000000004FE0: DBFE0800 5800001A
	ds_read_b128 a[92:95], v27 offset:2048                     // 000000004FE8: DBFE0800 5C00001B
	ds_read_b128 a[96:99], v26 offset:3072                     // 000000004FF0: DBFE0C00 6000001A
	ds_read_b128 a[100:103], v27 offset:3072                   // 000000004FF8: DBFE0C00 6400001B
	v_fma_f32 v53, v53, s5, -v212                              // 000000005000: D1CB0035 87500B35
	v_fma_f32 v54, v54, s5, -v212                              // 000000005008: D1CB0036 87500B36
	v_fma_f32 v55, v55, s5, -v212                              // 000000005010: D1CB0037 87500B37
	v_fma_f32 v56, v56, s5, -v212                              // 000000005018: D1CB0038 87500B38
	v_fma_f32 v57, v57, s5, -v212                              // 000000005020: D1CB0039 87500B39
	v_fma_f32 v58, v58, s5, -v212                              // 000000005028: D1CB003A 87500B3A
	v_fma_f32 v59, v59, s5, -v212                              // 000000005030: D1CB003B 87500B3B
	v_exp_f32_e32 v44, v44                                     // 000000005038: 7E58412C
	v_exp_f32_e32 v45, v45                                     // 00000000503C: 7E5A412D
	v_mfma_f32_32x32x64_f8f6f4 v[156:171], a[112:119], v[60:67], v[156:171]// 000000005040: D3AE009C 0E727970
	buffer_load_dwordx4 v217, s[20:23], 0 offen offset:192 lds // 000000005048: E05D10C0 800500D9
	s_add_i32 m0, m0, 0x3c0                                    // 000000005050: 817CFF7C 000003C0
	v_exp_f32_e32 v46, v46                                     // 000000005058: 7E5C412E
	v_exp_f32_e32 v47, v47                                     // 00000000505C: 7E5E412F
	v_exp_f32_e32 v48, v48                                     // 000000005060: 7E604130
	v_exp_f32_e32 v49, v49                                     // 000000005064: 7E624131
	v_exp_f32_e32 v50, v50                                     // 000000005068: 7E644132
	v_exp_f32_e32 v51, v51                                     // 00000000506C: 7E664133
	v_exp_f32_e32 v52, v52                                     // 000000005070: 7E684134
	v_mfma_f32_32x32x64_f8f6f4 v[172:187], a[120:127], v[60:67], v[172:187]// 000000005074: D3AE00AC 0EB27978
	ds_read_b128 a[104:107], v26 offset:4096                   // 00000000507C: DBFE1000 6800001A
	ds_read_b128 a[108:111], v27 offset:4096                   // 000000005084: DBFE1000 6C00001B
	ds_read_b128 a[112:115], v26 offset:5120                   // 00000000508C: DBFE1400 7000001A
	ds_read_b128 a[116:119], v27 offset:5120                   // 000000005094: DBFE1400 7400001B
	ds_read_b128 a[120:123], v26 offset:6144                   // 00000000509C: DBFE1800 7800001A
	ds_read_b128 a[124:127], v27 offset:6144                   // 0000000050A4: DBFE1800 7C00001B
	v_exp_f32_e32 v53, v53                                     // 0000000050AC: 7E6A4135
	v_exp_f32_e32 v54, v54                                     // 0000000050B0: 7E6C4136
	v_exp_f32_e32 v55, v55                                     // 0000000050B4: 7E6E4137
	v_exp_f32_e32 v56, v56                                     // 0000000050B8: 7E704138
	v_exp_f32_e32 v57, v57                                     // 0000000050BC: 7E724139
	v_mfma_f32_32x32x64_f8f6f4 v[188:203], a[128:135], v[60:67], v[188:203]// 0000000050C0: D3AE00BC 0EF27980
	ds_read_b128 a[128:131], v26 offset:7168                   // 0000000050C8: DBFE1C00 8000001A
	ds_read_b128 a[132:135], v27 offset:7168                   // 0000000050D0: DBFE1C00 8400001B
	ds_read_b128 a[136:139], v26 offset:8192                   // 0000000050D8: DBFE2000 8800001A
	ds_read_b128 a[140:143], v27 offset:8192                   // 0000000050E0: DBFE2000 8C00001B
	v_exp_f32_e32 v58, v58                                     // 0000000050E8: 7E74413A
	v_exp_f32_e32 v59, v59                                     // 0000000050EC: 7E76413B
	v_mul_f32_e32 v4, v21, v4                                  // 0000000050F0: 0A080915
	v_mov_b32_e32 v35, v44                                     // 0000000050F4: 7E46032C
	v_add_f32_e32 v35, v45, v35                                // 0000000050F8: 0246472D
	v_add_f32_e32 v35, v46, v35                                // 0000000050FC: 0246472E
	v_add_f32_e32 v35, v47, v35                                // 000000005100: 0246472F
	v_add_f32_e32 v35, v48, v35                                // 000000005104: 02464730
	v_add_f32_e32 v35, v49, v35                                // 000000005108: 02464731
	v_add_f32_e32 v35, v50, v35                                // 00000000510C: 02464732
	v_add_f32_e32 v35, v51, v35                                // 000000005110: 02464733
	v_add_f32_e32 v35, v52, v35                                // 000000005114: 02464734
	;; [unrolled: 1-line block ×3, first 2 shown]
	v_add_f32_e32 v35, v54, v35                                // 00000000511C: 02464736
	v_add_f32_e32 v35, v55, v35                                // 000000005120: 02464737
	v_add_f32_e32 v35, v56, v35                                // 000000005124: 02464738
	;; [unrolled: 1-line block ×3, first 2 shown]
	v_add_f32_e32 v35, v58, v35                                // 00000000512C: 0246473A
	v_add_f32_e32 v35, v59, v35                                // 000000005130: 0246473B
	v_add_f32_e32 v4, v35, v4                                  // 000000005134: 02080923
	v_cvt_pk_fp8_f32 v44, v44, v45                             // 000000005138: D2A2002C 00025B2C
	v_cvt_pk_fp8_f32 v44, v46, v47 op_sel:[0,0,1]              // 000000005140: D2A2402C 00025F2E
	v_cvt_pk_fp8_f32 v45, v48, v49                             // 000000005148: D2A2002D 00026330
	v_cvt_pk_fp8_f32 v45, v50, v51 op_sel:[0,0,1]              // 000000005150: D2A2402D 00026732
	v_cvt_pk_fp8_f32 v46, v52, v53                             // 000000005158: D2A2002E 00026B34
	v_cvt_pk_fp8_f32 v46, v54, v55 op_sel:[0,0,1]              // 000000005160: D2A2402E 00026F36
	v_cvt_pk_fp8_f32 v47, v56, v57                             // 000000005168: D2A2002F 00027338
	v_cvt_pk_fp8_f32 v47, v58, v59 op_sel:[0,0,1]              // 000000005170: D2A2402F 0002773A
	s_waitcnt lgkmcnt(8)                                       // 000000005178: BF8CC87F
	v_mfma_f32_32x32x64_f8f6f4 v[60:75], a[72:79], a[0:7], 0   // 00000000517C: D3AE003C 1A020148
	ds_write_b128 v43, v[44:47] offset:1024                    // 000000005184: D9BE0400 00002C2B
	buffer_load_dword v31, v34, s[24:27], 0 offen              // 00000000518C: E0501000 80061F22
	buffer_load_dwordx4 v217, s[20:23], 0 offen offset:256 lds // 000000005194: E05D1100 800500D9
	s_add_i32 m0, m0, 0x3c0                                    // 00000000519C: 817CFF7C 000003C0
	v_mul_f32_e32 v76, v21, v76                                // 0000000051A4: 0A989915
	v_mul_f32_e32 v77, v21, v77                                // 0000000051A8: 0A9A9B15
	v_mul_f32_e32 v78, v21, v78                                // 0000000051AC: 0A9C9D15
	v_mul_f32_e32 v79, v21, v79                                // 0000000051B0: 0A9E9F15
	v_mul_f32_e32 v80, v21, v80                                // 0000000051B4: 0AA0A115
	v_mul_f32_e32 v81, v21, v81                                // 0000000051B8: 0AA2A315
	v_mul_f32_e32 v82, v21, v82                                // 0000000051BC: 0AA4A515
	v_mul_f32_e32 v83, v21, v83                                // 0000000051C0: 0AA6A715
	v_mul_f32_e32 v84, v21, v84                                // 0000000051C4: 0AA8A915
	v_mfma_f32_32x32x64_f8f6f4 v[60:75], a[80:87], a[8:15], v[60:75]// 0000000051C8: D3AE003C 1CF21150
	ds_read_b64_tr_b8 a[72:73], v9                             // 0000000051D0: DBC40000 48000009
	ds_read_b64_tr_b8 a[74:75], v10                            // 0000000051D8: DBC40000 4A00000A
	ds_read_b64_tr_b8 a[76:77], v9 offset:18432                // 0000000051E0: DBC44800 4C000009
	ds_read_b64_tr_b8 a[78:79], v10 offset:18432               // 0000000051E8: DBC44800 4E00000A
	ds_read_b64_tr_b8 a[80:81], v11                            // 0000000051F0: DBC40000 5000000B
	ds_read_b64_tr_b8 a[82:83], v12                            // 0000000051F8: DBC40000 5200000C
	ds_read_b64_tr_b8 a[84:85], v11 offset:18432               // 000000005200: DBC44800 5400000B
	ds_read_b64_tr_b8 a[86:87], v12 offset:18432               // 000000005208: DBC44800 5600000C
	v_mul_f32_e32 v85, v21, v85                                // 000000005210: 0AAAAB15
	v_mul_f32_e32 v86, v21, v86                                // 000000005214: 0AACAD15
	v_mul_f32_e32 v87, v21, v87                                // 000000005218: 0AAEAF15
	v_mul_f32_e32 v88, v21, v88                                // 00000000521C: 0AB0B115
	v_mul_f32_e32 v89, v21, v89                                // 000000005220: 0AB2B315
	v_mul_f32_e32 v90, v21, v90                                // 000000005224: 0AB4B515
	v_mul_f32_e32 v91, v21, v91                                // 000000005228: 0AB6B715
	v_mul_f32_e32 v92, v21, v92                                // 00000000522C: 0AB8B915
	v_mul_f32_e32 v93, v21, v93                                // 000000005230: 0ABABB15
	v_mul_f32_e32 v94, v21, v94                                // 000000005234: 0ABCBD15
	v_mul_f32_e32 v95, v21, v95                                // 000000005238: 0ABEBF15
	v_mul_f32_e32 v96, v21, v96                                // 00000000523C: 0AC0C115
	s_waitcnt lgkmcnt(0)                                       // 000000005240: BF8CC07F
	s_barrier                                                  // 000000005244: BF8A0000
	v_mfma_f32_32x32x64_f8f6f4 v[60:75], a[88:95], a[16:23], v[60:75]// 000000005248: D3AE003C 1CF22158
	ds_read_b128 v[44:47], v42 offset:1024                     // 000000005250: D9FE0400 2C00002A
	ds_read_b128 v[48:51], v42 offset:2048                     // 000000005258: D9FE0800 3000002A
	buffer_load_dwordx4 v217, s[20:23], 0 offen offset:320 lds // 000000005260: E05D1140 800500D9
	s_add_i32 m0, m0, 0x3c0                                    // 000000005268: 817CFF7C 000003C0
	v_mul_f32_e32 v97, v21, v97                                // 000000005270: 0AC2C315
	v_mul_f32_e32 v98, v21, v98                                // 000000005274: 0AC4C515
	v_mul_f32_e32 v99, v21, v99                                // 000000005278: 0AC6C715
	v_mul_f32_e32 v100, v21, v100                              // 00000000527C: 0AC8C915
	v_mul_f32_e32 v101, v21, v101                              // 000000005280: 0ACACB15
	v_mul_f32_e32 v102, v21, v102                              // 000000005284: 0ACCCD15
	v_mul_f32_e32 v103, v21, v103                              // 000000005288: 0ACECF15
	v_mul_f32_e32 v104, v21, v104                              // 00000000528C: 0AD0D115
	v_mul_f32_e32 v105, v21, v105                              // 000000005290: 0AD2D315
	v_mul_f32_e32 v106, v21, v106                              // 000000005294: 0AD4D515
	v_mul_f32_e32 v107, v21, v107                              // 000000005298: 0AD6D715
	v_mul_f32_e32 v108, v21, v108                              // 00000000529C: 0AD8D915
	v_add_u32_e32 v34, s73, v34                                // 0000000052A0: 68444449
	v_mfma_f32_32x32x64_f8f6f4 v[60:75], a[96:103], a[24:31], v[60:75]// 0000000052A4: D3AE003C 1CF23160
	ds_read_b64_tr_b8 a[88:89], v9 offset:1024                 // 0000000052AC: DBC40400 58000009
	ds_read_b64_tr_b8 a[90:91], v10 offset:1024                // 0000000052B4: DBC40400 5A00000A
	ds_read_b64_tr_b8 a[92:93], v9 offset:19456                // 0000000052BC: DBC44C00 5C000009
	ds_read_b64_tr_b8 a[94:95], v10 offset:19456               // 0000000052C4: DBC44C00 5E00000A
	ds_read_b64_tr_b8 a[96:97], v11 offset:1024                // 0000000052CC: DBC40400 6000000B
	ds_read_b64_tr_b8 a[98:99], v12 offset:1024                // 0000000052D4: DBC40400 6200000C
	ds_read_b64_tr_b8 a[100:101], v11 offset:19456             // 0000000052DC: DBC44C00 6400000B
	ds_read_b64_tr_b8 a[102:103], v12 offset:19456             // 0000000052E4: DBC44C00 6600000C
	v_mul_f32_e32 v109, v21, v109                              // 0000000052EC: 0ADADB15
	v_mul_f32_e32 v110, v21, v110                              // 0000000052F0: 0ADCDD15
	v_mul_f32_e32 v111, v21, v111                              // 0000000052F4: 0ADEDF15
	v_mul_f32_e32 v112, v21, v112                              // 0000000052F8: 0AE0E115
	v_mul_f32_e32 v113, v21, v113                              // 0000000052FC: 0AE2E315
	v_mul_f32_e32 v114, v21, v114                              // 000000005300: 0AE4E515
	v_mul_f32_e32 v115, v21, v115                              // 000000005304: 0AE6E715
	v_mul_f32_e32 v116, v21, v116                              // 000000005308: 0AE8E915
	v_mul_f32_e32 v117, v21, v117                              // 00000000530C: 0AEAEB15
	v_mul_f32_e32 v118, v21, v118                              // 000000005310: 0AECED15
	v_mul_f32_e32 v119, v21, v119                              // 000000005314: 0AEEEF15
	v_mul_f32_e32 v120, v21, v120                              // 000000005318: 0AF0F115
	v_mfma_f32_32x32x64_f8f6f4 v[60:75], a[104:111], a[32:39], v[60:75]// 00000000531C: D3AE003C 1CF24168
	buffer_load_dwordx4 v217, s[20:23], 0 offen offset:384 lds // 000000005324: E05D1180 800500D9
	s_add_i32 m0, m0, 0x3c0                                    // 00000000532C: 817CFF7C 000003C0
	v_mul_f32_e32 v121, v21, v121                              // 000000005334: 0AF2F315
	v_mul_f32_e32 v122, v21, v122                              // 000000005338: 0AF4F515
	v_mul_f32_e32 v123, v21, v123                              // 00000000533C: 0AF6F715
	v_mul_f32_e32 v124, v21, v124                              // 000000005340: 0AF8F915
	v_mul_f32_e32 v125, v21, v125                              // 000000005344: 0AFAFB15
	v_mul_f32_e32 v126, v21, v126                              // 000000005348: 0AFCFD15
	v_mul_f32_e32 v127, v21, v127                              // 00000000534C: 0AFEFF15
	v_mul_f32_e32 v128, v21, v128                              // 000000005350: 0B010115
	v_mul_f32_e32 v129, v21, v129                              // 000000005354: 0B030315
	v_mul_f32_e32 v130, v21, v130                              // 000000005358: 0B050515
	v_mul_f32_e32 v131, v21, v131                              // 00000000535C: 0B070715
	v_mul_f32_e32 v132, v21, v132                              // 000000005360: 0B090915
	v_mfma_f32_32x32x64_f8f6f4 v[60:75], a[112:119], a[40:47], v[60:75]// 000000005364: D3AE003C 1CF25170
	s_waitcnt lgkmcnt(0)                                       // 00000000536C: BF8CC07F
	ds_read_b64_tr_b8 a[104:105], v9 offset:2048               // 000000005370: DBC40800 68000009
	ds_read_b64_tr_b8 a[106:107], v10 offset:2048              // 000000005378: DBC40800 6A00000A
	ds_read_b64_tr_b8 a[108:109], v9 offset:20480              // 000000005380: DBC45000 6C000009
	ds_read_b64_tr_b8 a[110:111], v10 offset:20480             // 000000005388: DBC45000 6E00000A
	ds_read_b64_tr_b8 a[112:113], v11 offset:2048              // 000000005390: DBC40800 7000000B
	ds_read_b64_tr_b8 a[114:115], v12 offset:2048              // 000000005398: DBC40800 7200000C
	ds_read_b64_tr_b8 a[116:117], v11 offset:20480             // 0000000053A0: DBC45000 7400000B
	ds_read_b64_tr_b8 a[118:119], v12 offset:20480             // 0000000053A8: DBC45000 7600000C
	v_mul_f32_e32 v133, v21, v133                              // 0000000053B0: 0B0B0B15
	v_mul_f32_e32 v134, v21, v134                              // 0000000053B4: 0B0D0D15
	v_mul_f32_e32 v135, v21, v135                              // 0000000053B8: 0B0F0F15
	v_mul_f32_e32 v136, v21, v136                              // 0000000053BC: 0B111115
	v_mul_f32_e32 v137, v21, v137                              // 0000000053C0: 0B131315
	v_mul_f32_e32 v138, v21, v138                              // 0000000053C4: 0B151515
	v_mul_f32_e32 v139, v21, v139                              // 0000000053C8: 0B171715
	v_mfma_f32_32x32x64_f8f6f4 v[60:75], a[120:127], a[48:55], v[60:75]// 0000000053CC: D3AE003C 1CF26178
	buffer_load_dwordx4 v217, s[20:23], 0 offen offset:448 lds // 0000000053D4: E05D11C0 800500D9
	s_add_i32 m0, m0, 0x3c0                                    // 0000000053DC: 817CFF7C 000003C0
	v_permlane32_swap_b32_e32 v44, v46                         // 0000000053E4: 7E58B52E
	v_permlane32_swap_b32_e32 v45, v47                         // 0000000053E8: 7E5AB52F
	v_swap_b32 v45, v46                                        // 0000000053EC: 7E5AA32E
	v_permlane32_swap_b32_e32 v48, v50                         // 0000000053F0: 7E60B532
	v_permlane32_swap_b32_e32 v49, v51                         // 0000000053F4: 7E62B533
	v_swap_b32 v49, v50                                        // 0000000053F8: 7E62A332
	v_mfma_f32_32x32x64_f8f6f4 v[60:75], a[128:135], a[56:63], v[60:75]// 0000000053FC: D3AE003C 1CF27180
	ds_read_b64_tr_b8 a[120:121], v9 offset:3072               // 000000005404: DBC40C00 78000009
	ds_read_b64_tr_b8 a[122:123], v10 offset:3072              // 00000000540C: DBC40C00 7A00000A
	ds_read_b64_tr_b8 a[124:125], v9 offset:21504              // 000000005414: DBC45400 7C000009
	ds_read_b64_tr_b8 a[126:127], v10 offset:21504             // 00000000541C: DBC45400 7E00000A
	ds_read_b64_tr_b8 a[128:129], v11 offset:3072              // 000000005424: DBC40C00 8000000B
	ds_read_b64_tr_b8 a[130:131], v12 offset:3072              // 00000000542C: DBC40C00 8200000C
	ds_read_b64_tr_b8 a[132:133], v11 offset:21504             // 000000005434: DBC45400 8400000B
	ds_read_b64_tr_b8 a[134:135], v12 offset:21504             // 00000000543C: DBC45400 8600000C
	v_mov_b32_e32 v36, v21                                     // 000000005444: 7E480315
	v_mov_b32_e32 v37, v21                                     // 000000005448: 7E4A0315
	v_pk_mul_f32 v[140:141], v[36:37], v[140:141]              // 00000000544C: D3B1408C 18031924
	v_pk_mul_f32 v[142:143], v[36:37], v[142:143]              // 000000005454: D3B1408E 18031D24
	v_pk_mul_f32 v[144:145], v[36:37], v[144:145]              // 00000000545C: D3B14090 18032124
	v_pk_mul_f32 v[146:147], v[36:37], v[146:147]              // 000000005464: D3B14092 18032524
	v_pk_mul_f32 v[148:149], v[36:37], v[148:149]              // 00000000546C: D3B14094 18032924
	v_pk_mul_f32 v[150:151], v[36:37], v[150:151]              // 000000005474: D3B14096 18032D24
	v_pk_mul_f32 v[152:153], v[36:37], v[152:153]              // 00000000547C: D3B14098 18033124
	v_pk_mul_f32 v[154:155], v[36:37], v[154:155]              // 000000005484: D3B1409A 18033524
	v_pk_mul_f32 v[156:157], v[36:37], v[156:157]              // 00000000548C: D3B1409C 18033924
	v_pk_mul_f32 v[158:159], v[36:37], v[158:159]              // 000000005494: D3B1409E 18033D24
	v_pk_mul_f32 v[160:161], v[36:37], v[160:161]              // 00000000549C: D3B140A0 18034124
	v_pk_mul_f32 v[162:163], v[36:37], v[162:163]              // 0000000054A4: D3B140A2 18034524
	v_pk_mul_f32 v[164:165], v[36:37], v[164:165]              // 0000000054AC: D3B140A4 18034924
	v_pk_mul_f32 v[166:167], v[36:37], v[166:167]              // 0000000054B4: D3B140A6 18034D24
	v_pk_mul_f32 v[168:169], v[36:37], v[168:169]              // 0000000054BC: D3B140A8 18035124
	v_pk_mul_f32 v[170:171], v[36:37], v[170:171]              // 0000000054C4: D3B140AA 18035524
	v_pk_mul_f32 v[172:173], v[36:37], v[172:173]              // 0000000054CC: D3B140AC 18035924
	v_pk_mul_f32 v[174:175], v[36:37], v[174:175]              // 0000000054D4: D3B140AE 18035D24
	v_pk_mul_f32 v[176:177], v[36:37], v[176:177]              // 0000000054DC: D3B140B0 18036124
	v_pk_mul_f32 v[178:179], v[36:37], v[178:179]              // 0000000054E4: D3B140B2 18036524
	v_pk_mul_f32 v[180:181], v[36:37], v[180:181]              // 0000000054EC: D3B140B4 18036924
	v_pk_mul_f32 v[182:183], v[36:37], v[182:183]              // 0000000054F4: D3B140B6 18036D24
	v_pk_mul_f32 v[184:185], v[36:37], v[184:185]              // 0000000054FC: D3B140B8 18037124
	v_pk_mul_f32 v[186:187], v[36:37], v[186:187]              // 000000005504: D3B140BA 18037524
	v_pk_mul_f32 v[188:189], v[36:37], v[188:189]              // 00000000550C: D3B140BC 18037924
	v_pk_mul_f32 v[190:191], v[36:37], v[190:191]              // 000000005514: D3B140BE 18037D24
	v_pk_mul_f32 v[192:193], v[36:37], v[192:193]              // 00000000551C: D3B140C0 18038124
	v_pk_mul_f32 v[194:195], v[36:37], v[194:195]              // 000000005524: D3B140C2 18038524
	v_pk_mul_f32 v[196:197], v[36:37], v[196:197]              // 00000000552C: D3B140C4 18038924
	v_pk_mul_f32 v[198:199], v[36:37], v[198:199]              // 000000005534: D3B140C6 18038D24
	v_pk_mul_f32 v[200:201], v[36:37], v[200:201]              // 00000000553C: D3B140C8 18039124
	v_pk_mul_f32 v[202:203], v[36:37], v[202:203]              // 000000005544: D3B140CA 18039524
	v_mfma_f32_32x32x64_f8f6f4 v[60:75], a[136:143], a[64:71], v[60:75]// 00000000554C: D3AE003C 1CF28188
	buffer_load_dwordx4 v217, s[20:23], 0 offen offset:512 lds // 000000005554: E05D1200 800500D9
	s_add_i32 m0, m0, 0x3c0                                    // 00000000555C: 817CFF7C 000003C0
	s_addk_i32 s70, 0x1                                        // 000000005564: B7460001
	s_cmp_lt_i32 s70, s71                                      // 000000005568: BF044746
	s_cbranch_scc0 label_3174                                  // 00000000556C: BF840001
	s_branch label_14A0                                        // 000000005570: BF82F8CB

0000000000005574 <label_3174>:
	s_nop 0                                                    // 000000005574: BF800000
	s_nop 0                                                    // 000000005578: BF800000
	s_branch label_502C                                        // 00000000557C: BF8207AB

0000000000005580 <label_3180>:
	v_mul_u32_u24_e64 v217, v30, s68                           // 000000005580: D10800D9 0000891E
	v_add_u32_e32 v217, v217, v1                               // 000000005588: 69B203D9
	s_waitcnt vmcnt(10)                                        // 00000000558C: BF8C0F7A
	s_barrier                                                  // 000000005590: BF8A0000
	s_waitcnt lgkmcnt(8)                                       // 000000005594: BF8CC87F
	v_mfma_f32_32x32x64_f8f6f4 v[76:91], a[72:79], v[44:51], v[76:91]// 000000005598: D3AE004C 0D325948
	v_mov_b32_e32 v213, v60                                    // 0000000055A0: 7FAA033C
	v_max3_f32 v213, v60, v61, v213                            // 0000000055A4: D1D300D5 07567B3C
	v_max3_f32 v213, v62, v63, v213                            // 0000000055AC: D1D300D5 07567F3E
	v_max3_f32 v213, v64, v65, v213                            // 0000000055B4: D1D300D5 07568340
	v_max3_f32 v213, v66, v67, v213                            // 0000000055BC: D1D300D5 07568742
	v_max3_f32 v213, v68, v69, v213                            // 0000000055C4: D1D300D5 07568B44
	v_max3_f32 v213, v70, v71, v213                            // 0000000055CC: D1D300D5 07568F46
	v_max3_f32 v213, v72, v73, v213                            // 0000000055D4: D1D300D5 07569348
	v_max3_f32 v213, v74, v75, v213                            // 0000000055DC: D1D300D5 0756974A
	v_mov_b32_e32 v35, v213                                    // 0000000055E4: 7E4603D5
	v_mov_b32_e32 v36, v213                                    // 0000000055E8: 7E4803D5
	s_nop 0                                                    // 0000000055EC: BF800000
	ds_read_b128 a[72:75], v28                                 // 0000000055F0: DBFE0000 4800001C
	ds_read_b128 a[76:79], v29                                 // 0000000055F8: DBFE0000 4C00001D
	v_mfma_f32_32x32x64_f8f6f4 v[92:107], a[80:87], v[44:51], v[92:107]// 000000005600: D3AE005C 0D725950
	v_permlane32_swap_b32_e32 v35, v36                         // 000000005608: 7E46B524
	v_max3_f32 v213, v35, v36, v213                            // 00000000560C: D1D300D5 07564923
	ds_write_b32 v41, v213                                     // 000000005614: D81A0000 0000D529
	s_mov_b32 s56, 0xb000                                      // 00000000561C: BEB800FF 0000B000
	s_mul_i32 s57, s7, 0x2400                                  // 000000005624: 9239FF07 00002400
	s_add_u32 m0, s56, s57                                     // 00000000562C: 807C3938
	buffer_load_dwordx4 v217, s[20:23], 0 offen lds            // 000000005630: E05D1000 800500D9
	s_add_i32 m0, m0, 0x3c0                                    // 000000005638: 817CFF7C 000003C0
	buffer_load_dwordx4 v217, s[20:23], 0 offen offset:64 lds  // 000000005640: E05D1040 800500D9
	s_add_i32 m0, m0, 0x3c0                                    // 000000005648: 817CFF7C 000003C0
	s_waitcnt lgkmcnt(0)                                       // 000000005650: BF8CC07F
	s_barrier                                                  // 000000005654: BF8A0000
	v_mfma_f32_32x32x64_f8f6f4 v[108:123], a[88:95], v[44:51], v[108:123]// 000000005658: D3AE006C 0DB25958
	ds_read_b32 v35, v40                                       // 000000005660: D86C0000 23000028
	ds_read_b32 v36, v40 offset:256                            // 000000005668: D86C0100 24000028
	s_waitcnt lgkmcnt(0)                                       // 000000005670: BF8CC07F
	v_max3_f32 v213, v35, v36, v213                            // 000000005674: D1D300D5 07564923
	v_mov_b32_e32 v35, 0xff800000                              // 00000000567C: 7E4602FF FF800000
	v_cmp_eq_u32_e64 s[36:37], v35, v2                         // 000000005684: D0CA0024 00020523
	v_max_f32_e32 v216, v213, v2                               // 00000000568C: 17B005D5
	v_sub_f32_e32 v21, v2, v216                                // 000000005690: 042BB102
	v_cndmask_b32_e64 v21, v21, 0, s[36:37]                    // 000000005694: D1000015 00910115
	v_mfma_f32_32x32x64_f8f6f4 v[124:139], a[96:103], v[44:51], v[124:139]// 00000000569C: D3AE007C 0DF25960
	ds_read_b128 a[80:83], v28 offset:1024                     // 0000000056A4: DBFE0400 5000001C
	ds_read_b128 a[84:87], v29 offset:1024                     // 0000000056AC: DBFE0400 5400001D
	ds_read_b128 a[88:91], v28 offset:2048                     // 0000000056B4: DBFE0800 5800001C
	ds_read_b128 a[92:95], v29 offset:2048                     // 0000000056BC: DBFE0800 5C00001D
	ds_read_b128 a[96:99], v28 offset:3072                     // 0000000056C4: DBFE0C00 6000001C
	ds_read_b128 a[100:103], v29 offset:3072                   // 0000000056CC: DBFE0C00 6400001D
	v_mov_b32_e32 v2, v216                                     // 0000000056D4: 7E0403D8
	v_mul_f32_e32 v212, s5, v216                               // 0000000056D8: 0BA9B005
	v_mul_f32_e32 v21, s5, v21                                 // 0000000056DC: 0A2A2A05
	v_exp_f32_e32 v21, v21                                     // 0000000056E0: 7E2A4115
	v_fma_f32 v60, v60, s5, -v212                              // 0000000056E4: D1CB003C 87500B3C
	v_fma_f32 v61, v61, s5, -v212                              // 0000000056EC: D1CB003D 87500B3D
	v_fma_f32 v62, v62, s5, -v212                              // 0000000056F4: D1CB003E 87500B3E
	v_fma_f32 v63, v63, s5, -v212                              // 0000000056FC: D1CB003F 87500B3F
	v_fma_f32 v64, v64, s5, -v212                              // 000000005704: D1CB0040 87500B40
	v_mfma_f32_32x32x64_f8f6f4 v[140:155], a[104:111], v[44:51], v[140:155]// 00000000570C: D3AE008C 0E325968
	buffer_load_dwordx4 v217, s[20:23], 0 offen offset:128 lds // 000000005714: E05D1080 800500D9
	s_add_i32 m0, m0, 0x3c0                                    // 00000000571C: 817CFF7C 000003C0
	v_fma_f32 v65, v65, s5, -v212                              // 000000005724: D1CB0041 87500B41
	v_fma_f32 v66, v66, s5, -v212                              // 00000000572C: D1CB0042 87500B42
	v_fma_f32 v67, v67, s5, -v212                              // 000000005734: D1CB0043 87500B43
	v_fma_f32 v68, v68, s5, -v212                              // 00000000573C: D1CB0044 87500B44
	v_fma_f32 v69, v69, s5, -v212                              // 000000005744: D1CB0045 87500B45
	v_fma_f32 v70, v70, s5, -v212                              // 00000000574C: D1CB0046 87500B46
	v_fma_f32 v71, v71, s5, -v212                              // 000000005754: D1CB0047 87500B47
	v_fma_f32 v72, v72, s5, -v212                              // 00000000575C: D1CB0048 87500B48
	v_fma_f32 v73, v73, s5, -v212                              // 000000005764: D1CB0049 87500B49
	v_fma_f32 v74, v74, s5, -v212                              // 00000000576C: D1CB004A 87500B4A
	v_fma_f32 v75, v75, s5, -v212                              // 000000005774: D1CB004B 87500B4B
	v_exp_f32_e32 v60, v60                                     // 00000000577C: 7E78413C
	v_exp_f32_e32 v61, v61                                     // 000000005780: 7E7A413D
	v_mfma_f32_32x32x64_f8f6f4 v[156:171], a[112:119], v[44:51], v[156:171]// 000000005784: D3AE009C 0E725970
	ds_read_b128 a[104:107], v28 offset:4096                   // 00000000578C: DBFE1000 6800001C
	ds_read_b128 a[108:111], v29 offset:4096                   // 000000005794: DBFE1000 6C00001D
	ds_read_b128 a[112:115], v28 offset:5120                   // 00000000579C: DBFE1400 7000001C
	ds_read_b128 a[116:119], v29 offset:5120                   // 0000000057A4: DBFE1400 7400001D
	ds_read_b128 a[120:123], v28 offset:6144                   // 0000000057AC: DBFE1800 7800001C
	ds_read_b128 a[124:127], v29 offset:6144                   // 0000000057B4: DBFE1800 7C00001D
	v_exp_f32_e32 v62, v62                                     // 0000000057BC: 7E7C413E
	v_exp_f32_e32 v63, v63                                     // 0000000057C0: 7E7E413F
	v_exp_f32_e32 v64, v64                                     // 0000000057C4: 7E804140
	v_exp_f32_e32 v65, v65                                     // 0000000057C8: 7E824141
	v_exp_f32_e32 v66, v66                                     // 0000000057CC: 7E844142
	v_mfma_f32_32x32x64_f8f6f4 v[172:187], a[120:127], v[44:51], v[172:187]// 0000000057D0: D3AE00AC 0EB25978
	buffer_load_dwordx4 v217, s[20:23], 0 offen offset:192 lds // 0000000057D8: E05D10C0 800500D9
	s_add_i32 m0, m0, 0x3c0                                    // 0000000057E0: 817CFF7C 000003C0
	v_exp_f32_e32 v67, v67                                     // 0000000057E8: 7E864143
	v_exp_f32_e32 v68, v68                                     // 0000000057EC: 7E884144
	v_exp_f32_e32 v69, v69                                     // 0000000057F0: 7E8A4145
	v_exp_f32_e32 v70, v70                                     // 0000000057F4: 7E8C4146
	v_exp_f32_e32 v71, v71                                     // 0000000057F8: 7E8E4147
	v_exp_f32_e32 v72, v72                                     // 0000000057FC: 7E904148
	v_exp_f32_e32 v73, v73                                     // 000000005800: 7E924149
	v_mfma_f32_32x32x64_f8f6f4 v[188:203], a[128:135], v[44:51], v[188:203]// 000000005804: D3AE00BC 0EF25980
	v_exp_f32_e32 v74, v74                                     // 00000000580C: 7E94414A
	v_exp_f32_e32 v75, v75                                     // 000000005810: 7E96414B
	v_mul_f32_e32 v4, v21, v4                                  // 000000005814: 0A080915
	v_mov_b32_e32 v35, v60                                     // 000000005818: 7E46033C
	v_add_f32_e32 v35, v61, v35                                // 00000000581C: 0246473D
	v_add_f32_e32 v35, v62, v35                                // 000000005820: 0246473E
	v_add_f32_e32 v35, v63, v35                                // 000000005824: 0246473F
	v_add_f32_e32 v35, v64, v35                                // 000000005828: 02464740
	ds_read_b128 a[128:131], v28 offset:7168                   // 00000000582C: DBFE1C00 8000001C
	ds_read_b128 a[132:135], v29 offset:7168                   // 000000005834: DBFE1C00 8400001D
	ds_read_b128 a[136:139], v28 offset:8192                   // 00000000583C: DBFE2000 8800001C
	ds_read_b128 a[140:143], v29 offset:8192                   // 000000005844: DBFE2000 8C00001D
	v_add_f32_e32 v35, v65, v35                                // 00000000584C: 02464741
	v_add_f32_e32 v35, v66, v35                                // 000000005850: 02464742
	v_add_f32_e32 v35, v67, v35                                // 000000005854: 02464743
	;; [unrolled: 1-line block ×3, first 2 shown]
	v_add_f32_e32 v35, v69, v35                                // 00000000585C: 02464745
	v_add_f32_e32 v35, v70, v35                                // 000000005860: 02464746
	v_add_f32_e32 v35, v71, v35                                // 000000005864: 02464747
	v_add_f32_e32 v35, v72, v35                                // 000000005868: 02464748
	v_add_f32_e32 v35, v73, v35                                // 00000000586C: 02464749
	v_add_f32_e32 v35, v74, v35                                // 000000005870: 0246474A
	v_add_f32_e32 v35, v75, v35                                // 000000005874: 0246474B
	v_add_f32_e32 v4, v35, v4                                  // 000000005878: 02080923
	v_cvt_pk_fp8_f32 v60, v60, v61                             // 00000000587C: D2A2003C 00027B3C
	v_cvt_pk_fp8_f32 v60, v62, v63 op_sel:[0,0,1]              // 000000005884: D2A2403C 00027F3E
	v_cvt_pk_fp8_f32 v61, v64, v65                             // 00000000588C: D2A2003D 00028340
	v_cvt_pk_fp8_f32 v61, v66, v67 op_sel:[0,0,1]              // 000000005894: D2A2403D 00028742
	v_cvt_pk_fp8_f32 v62, v68, v69                             // 00000000589C: D2A2003E 00028B44
	v_cvt_pk_fp8_f32 v62, v70, v71 op_sel:[0,0,1]              // 0000000058A4: D2A2403E 00028F46
	v_cvt_pk_fp8_f32 v63, v72, v73                             // 0000000058AC: D2A2003F 00029348
	v_cvt_pk_fp8_f32 v63, v74, v75 op_sel:[0,0,1]              // 0000000058B4: D2A2403F 0002974A
	s_waitcnt lgkmcnt(8)                                       // 0000000058BC: BF8CC87F
	v_mfma_f32_32x32x64_f8f6f4 v[44:59], a[72:79], a[0:7], 0   // 0000000058C0: D3AE002C 1A020148
	ds_write_b128 v43, v[60:63] offset:1024                    // 0000000058C8: D9BE0400 00003C2B
	v_mul_f32_e32 v76, v21, v76                                // 0000000058D0: 0A989915
	v_mul_f32_e32 v77, v21, v77                                // 0000000058D4: 0A9A9B15
	v_mul_f32_e32 v78, v21, v78                                // 0000000058D8: 0A9C9D15
	v_mul_f32_e32 v79, v21, v79                                // 0000000058DC: 0A9E9F15
	v_mul_f32_e32 v80, v21, v80                                // 0000000058E0: 0AA0A115
	v_mul_f32_e32 v81, v21, v81                                // 0000000058E4: 0AA2A315
	v_mul_f32_e32 v82, v21, v82                                // 0000000058E8: 0AA4A515
	v_mul_f32_e32 v83, v21, v83                                // 0000000058EC: 0AA6A715
	v_mul_f32_e32 v84, v21, v84                                // 0000000058F0: 0AA8A915
	v_mul_f32_e32 v85, v21, v85                                // 0000000058F4: 0AAAAB15
	v_mul_f32_e32 v86, v21, v86                                // 0000000058F8: 0AACAD15
	v_mul_f32_e32 v87, v21, v87                                // 0000000058FC: 0AAEAF15
	v_mul_f32_e32 v88, v21, v88                                // 000000005900: 0AB0B115
	v_mul_f32_e32 v89, v21, v89                                // 000000005904: 0AB2B315
	v_mfma_f32_32x32x64_f8f6f4 v[44:59], a[80:87], a[8:15], v[44:59]// 000000005908: D3AE002C 1CB21150
	buffer_load_dword v32, v34, s[24:27], 0 offen              // 000000005910: E0501000 80062022
	buffer_load_dwordx4 v217, s[20:23], 0 offen offset:256 lds // 000000005918: E05D1100 800500D9
	s_add_i32 m0, m0, 0x3c0                                    // 000000005920: 817CFF7C 000003C0
	v_mul_f32_e32 v90, v21, v90                                // 000000005928: 0AB4B515
	v_mul_f32_e32 v91, v21, v91                                // 00000000592C: 0AB6B715
	v_mul_f32_e32 v92, v21, v92                                // 000000005930: 0AB8B915
	v_mul_f32_e32 v93, v21, v93                                // 000000005934: 0ABABB15
	v_mul_f32_e32 v94, v21, v94                                // 000000005938: 0ABCBD15
	v_mul_f32_e32 v95, v21, v95                                // 00000000593C: 0ABEBF15
	v_mov_b32_e32 v36, v21                                     // 000000005940: 7E480315
	v_mov_b32_e32 v37, v21                                     // 000000005944: 7E4A0315
	v_pk_mul_f32 v[140:141], v[36:37], v[140:141]              // 000000005948: D3B1408C 18031924
	v_pk_mul_f32 v[142:143], v[36:37], v[142:143]              // 000000005950: D3B1408E 18031D24
	s_waitcnt lgkmcnt(0)                                       // 000000005958: BF8CC07F
	s_barrier                                                  // 00000000595C: BF8A0000
	v_mfma_f32_32x32x64_f8f6f4 v[44:59], a[88:95], a[16:23], v[44:59]// 000000005960: D3AE002C 1CB22158
	ds_read_b128 v[60:63], v42 offset:1024                     // 000000005968: D9FE0400 3C00002A
	ds_read_b128 v[64:67], v42 offset:2048                     // 000000005970: D9FE0800 4000002A
	ds_read_b64_tr_b8 a[72:73], v13                            // 000000005978: DBC40000 4800000D
	ds_read_b64_tr_b8 a[74:75], v14                            // 000000005980: DBC40000 4A00000E
	ds_read_b64_tr_b8 a[76:77], v13 offset:18432               // 000000005988: DBC44800 4C00000D
	ds_read_b64_tr_b8 a[78:79], v14 offset:18432               // 000000005990: DBC44800 4E00000E
	ds_read_b64_tr_b8 a[80:81], v15                            // 000000005998: DBC40000 5000000F
	ds_read_b64_tr_b8 a[82:83], v16                            // 0000000059A0: DBC40000 52000010
	ds_read_b64_tr_b8 a[84:85], v15 offset:18432               // 0000000059A8: DBC44800 5400000F
	ds_read_b64_tr_b8 a[86:87], v16 offset:18432               // 0000000059B0: DBC44800 56000010
	v_mul_f32_e32 v96, v21, v96                                // 0000000059B8: 0AC0C115
	v_mul_f32_e32 v97, v21, v97                                // 0000000059BC: 0AC2C315
	v_mul_f32_e32 v98, v21, v98                                // 0000000059C0: 0AC4C515
	v_mul_f32_e32 v99, v21, v99                                // 0000000059C4: 0AC6C715
	v_mul_f32_e32 v100, v21, v100                              // 0000000059C8: 0AC8C915
	v_mul_f32_e32 v101, v21, v101                              // 0000000059CC: 0ACACB15
	v_mul_f32_e32 v102, v21, v102                              // 0000000059D0: 0ACCCD15
	v_mul_f32_e32 v103, v21, v103                              // 0000000059D4: 0ACECF15
	v_mul_f32_e32 v104, v21, v104                              // 0000000059D8: 0AD0D115
	v_mul_f32_e32 v105, v21, v105                              // 0000000059DC: 0AD2D315
	v_mul_f32_e32 v106, v21, v106                              // 0000000059E0: 0AD4D515
	v_mul_f32_e32 v107, v21, v107                              // 0000000059E4: 0AD6D715
	v_add_u32_e32 v34, s73, v34                                // 0000000059E8: 68444449
	v_mfma_f32_32x32x64_f8f6f4 v[44:59], a[96:103], a[24:31], v[44:59]// 0000000059EC: D3AE002C 1CB23160
	buffer_load_dwordx4 v217, s[20:23], 0 offen offset:320 lds // 0000000059F4: E05D1140 800500D9
	s_add_i32 m0, m0, 0x3c0                                    // 0000000059FC: 817CFF7C 000003C0
	v_mul_f32_e32 v108, v21, v108                              // 000000005A04: 0AD8D915
	v_mul_f32_e32 v109, v21, v109                              // 000000005A08: 0ADADB15
	v_mul_f32_e32 v110, v21, v110                              // 000000005A0C: 0ADCDD15
	v_mul_f32_e32 v111, v21, v111                              // 000000005A10: 0ADEDF15
	v_mul_f32_e32 v112, v21, v112                              // 000000005A14: 0AE0E115
	v_mul_f32_e32 v113, v21, v113                              // 000000005A18: 0AE2E315
	v_mul_f32_e32 v114, v21, v114                              // 000000005A1C: 0AE4E515
	v_mul_f32_e32 v115, v21, v115                              // 000000005A20: 0AE6E715
	v_mul_f32_e32 v116, v21, v116                              // 000000005A24: 0AE8E915
	v_mul_f32_e32 v117, v21, v117                              // 000000005A28: 0AEAEB15
	v_mul_f32_e32 v118, v21, v118                              // 000000005A2C: 0AECED15
	v_mul_f32_e32 v119, v21, v119                              // 000000005A30: 0AEEEF15
	v_mfma_f32_32x32x64_f8f6f4 v[44:59], a[104:111], a[32:39], v[44:59]// 000000005A34: D3AE002C 1CB24168
	ds_read_b64_tr_b8 a[88:89], v13 offset:1024                // 000000005A3C: DBC40400 5800000D
	ds_read_b64_tr_b8 a[90:91], v14 offset:1024                // 000000005A44: DBC40400 5A00000E
	ds_read_b64_tr_b8 a[92:93], v13 offset:19456               // 000000005A4C: DBC44C00 5C00000D
	ds_read_b64_tr_b8 a[94:95], v14 offset:19456               // 000000005A54: DBC44C00 5E00000E
	ds_read_b64_tr_b8 a[96:97], v15 offset:1024                // 000000005A5C: DBC40400 6000000F
	ds_read_b64_tr_b8 a[98:99], v16 offset:1024                // 000000005A64: DBC40400 62000010
	ds_read_b64_tr_b8 a[100:101], v15 offset:19456             // 000000005A6C: DBC44C00 6400000F
	ds_read_b64_tr_b8 a[102:103], v16 offset:19456             // 000000005A74: DBC44C00 66000010
	v_mul_f32_e32 v120, v21, v120                              // 000000005A7C: 0AF0F115
	v_mul_f32_e32 v121, v21, v121                              // 000000005A80: 0AF2F315
	v_mul_f32_e32 v122, v21, v122                              // 000000005A84: 0AF4F515
	v_mul_f32_e32 v123, v21, v123                              // 000000005A88: 0AF6F715
	v_mul_f32_e32 v124, v21, v124                              // 000000005A8C: 0AF8F915
	v_mul_f32_e32 v125, v21, v125                              // 000000005A90: 0AFAFB15
	v_mul_f32_e32 v126, v21, v126                              // 000000005A94: 0AFCFD15
	v_mul_f32_e32 v127, v21, v127                              // 000000005A98: 0AFEFF15
	v_mul_f32_e32 v128, v21, v128                              // 000000005A9C: 0B010115
	v_mul_f32_e32 v129, v21, v129                              // 000000005AA0: 0B030315
	v_mul_f32_e32 v130, v21, v130                              // 000000005AA4: 0B050515
	v_mul_f32_e32 v131, v21, v131                              // 000000005AA8: 0B070715
	v_mfma_f32_32x32x64_f8f6f4 v[44:59], a[112:119], a[40:47], v[44:59]// 000000005AAC: D3AE002C 1CB25170
	s_waitcnt lgkmcnt(0)                                       // 000000005AB4: BF8CC07F
	buffer_load_dwordx4 v217, s[20:23], 0 offen offset:384 lds // 000000005AB8: E05D1180 800500D9
	s_add_i32 m0, m0, 0x3c0                                    // 000000005AC0: 817CFF7C 000003C0
	v_mul_f32_e32 v132, v21, v132                              // 000000005AC8: 0B090915
	v_mul_f32_e32 v133, v21, v133                              // 000000005ACC: 0B0B0B15
	v_mul_f32_e32 v134, v21, v134                              // 000000005AD0: 0B0D0D15
	v_mul_f32_e32 v135, v21, v135                              // 000000005AD4: 0B0F0F15
	v_mul_f32_e32 v136, v21, v136                              // 000000005AD8: 0B111115
	v_mul_f32_e32 v137, v21, v137                              // 000000005ADC: 0B131315
	v_mul_f32_e32 v138, v21, v138                              // 000000005AE0: 0B151515
	v_mul_f32_e32 v139, v21, v139                              // 000000005AE4: 0B171715
	v_mfma_f32_32x32x64_f8f6f4 v[44:59], a[120:127], a[48:55], v[44:59]// 000000005AE8: D3AE002C 1CB26178
	ds_read_b64_tr_b8 a[104:105], v13 offset:2048              // 000000005AF0: DBC40800 6800000D
	ds_read_b64_tr_b8 a[106:107], v14 offset:2048              // 000000005AF8: DBC40800 6A00000E
	ds_read_b64_tr_b8 a[108:109], v13 offset:20480             // 000000005B00: DBC45000 6C00000D
	ds_read_b64_tr_b8 a[110:111], v14 offset:20480             // 000000005B08: DBC45000 6E00000E
	ds_read_b64_tr_b8 a[112:113], v15 offset:2048              // 000000005B10: DBC40800 7000000F
	ds_read_b64_tr_b8 a[114:115], v16 offset:2048              // 000000005B18: DBC40800 72000010
	ds_read_b64_tr_b8 a[116:117], v15 offset:20480             // 000000005B20: DBC45000 7400000F
	ds_read_b64_tr_b8 a[118:119], v16 offset:20480             // 000000005B28: DBC45000 76000010
	v_permlane32_swap_b32_e32 v60, v62                         // 000000005B30: 7E78B53E
	v_permlane32_swap_b32_e32 v61, v63                         // 000000005B34: 7E7AB53F
	v_swap_b32 v61, v62                                        // 000000005B38: 7E7AA33E
	v_permlane32_swap_b32_e32 v64, v66                         // 000000005B3C: 7E80B542
	v_permlane32_swap_b32_e32 v65, v67                         // 000000005B40: 7E82B543
	v_swap_b32 v65, v66                                        // 000000005B44: 7E82A342
	v_mfma_f32_32x32x64_f8f6f4 v[44:59], a[128:135], a[56:63], v[44:59]// 000000005B48: D3AE002C 1CB27180
	buffer_load_dwordx4 v217, s[20:23], 0 offen offset:448 lds // 000000005B50: E05D11C0 800500D9
	s_add_i32 m0, m0, 0x3c0                                    // 000000005B58: 817CFF7C 000003C0
	v_pk_mul_f32 v[144:145], v[36:37], v[144:145]              // 000000005B60: D3B14090 18032124
	v_pk_mul_f32 v[146:147], v[36:37], v[146:147]              // 000000005B68: D3B14092 18032524
	v_pk_mul_f32 v[148:149], v[36:37], v[148:149]              // 000000005B70: D3B14094 18032924
	v_pk_mul_f32 v[150:151], v[36:37], v[150:151]              // 000000005B78: D3B14096 18032D24
	v_pk_mul_f32 v[152:153], v[36:37], v[152:153]              // 000000005B80: D3B14098 18033124
	v_pk_mul_f32 v[154:155], v[36:37], v[154:155]              // 000000005B88: D3B1409A 18033524
	v_pk_mul_f32 v[156:157], v[36:37], v[156:157]              // 000000005B90: D3B1409C 18033924
	v_pk_mul_f32 v[158:159], v[36:37], v[158:159]              // 000000005B98: D3B1409E 18033D24
	v_pk_mul_f32 v[160:161], v[36:37], v[160:161]              // 000000005BA0: D3B140A0 18034124
	v_pk_mul_f32 v[162:163], v[36:37], v[162:163]              // 000000005BA8: D3B140A2 18034524
	v_pk_mul_f32 v[164:165], v[36:37], v[164:165]              // 000000005BB0: D3B140A4 18034924
	v_pk_mul_f32 v[166:167], v[36:37], v[166:167]              // 000000005BB8: D3B140A6 18034D24
	v_pk_mul_f32 v[168:169], v[36:37], v[168:169]              // 000000005BC0: D3B140A8 18035124
	v_pk_mul_f32 v[170:171], v[36:37], v[170:171]              // 000000005BC8: D3B140AA 18035524
	v_pk_mul_f32 v[172:173], v[36:37], v[172:173]              // 000000005BD0: D3B140AC 18035924
	v_pk_mul_f32 v[174:175], v[36:37], v[174:175]              // 000000005BD8: D3B140AE 18035D24
	v_pk_mul_f32 v[176:177], v[36:37], v[176:177]              // 000000005BE0: D3B140B0 18036124
	v_pk_mul_f32 v[178:179], v[36:37], v[178:179]              // 000000005BE8: D3B140B2 18036524
	v_pk_mul_f32 v[180:181], v[36:37], v[180:181]              // 000000005BF0: D3B140B4 18036924
	v_pk_mul_f32 v[182:183], v[36:37], v[182:183]              // 000000005BF8: D3B140B6 18036D24
	v_pk_mul_f32 v[184:185], v[36:37], v[184:185]              // 000000005C00: D3B140B8 18037124
	v_pk_mul_f32 v[186:187], v[36:37], v[186:187]              // 000000005C08: D3B140BA 18037524
	v_pk_mul_f32 v[188:189], v[36:37], v[188:189]              // 000000005C10: D3B140BC 18037924
	v_pk_mul_f32 v[190:191], v[36:37], v[190:191]              // 000000005C18: D3B140BE 18037D24
	v_pk_mul_f32 v[192:193], v[36:37], v[192:193]              // 000000005C20: D3B140C0 18038124
	v_pk_mul_f32 v[194:195], v[36:37], v[194:195]              // 000000005C28: D3B140C2 18038524
	v_pk_mul_f32 v[196:197], v[36:37], v[196:197]              // 000000005C30: D3B140C4 18038924
	v_pk_mul_f32 v[198:199], v[36:37], v[198:199]              // 000000005C38: D3B140C6 18038D24
	v_pk_mul_f32 v[200:201], v[36:37], v[200:201]              // 000000005C40: D3B140C8 18039124
	v_pk_mul_f32 v[202:203], v[36:37], v[202:203]              // 000000005C48: D3B140CA 18039524
	v_mfma_f32_32x32x64_f8f6f4 v[44:59], a[136:143], a[64:71], v[44:59]// 000000005C50: D3AE002C 1CB28188
	ds_read_b64_tr_b8 a[120:121], v13 offset:3072              // 000000005C58: DBC40C00 7800000D
	ds_read_b64_tr_b8 a[122:123], v14 offset:3072              // 000000005C60: DBC40C00 7A00000E
	ds_read_b64_tr_b8 a[124:125], v13 offset:21504             // 000000005C68: DBC45400 7C00000D
	ds_read_b64_tr_b8 a[126:127], v14 offset:21504             // 000000005C70: DBC45400 7E00000E
	ds_read_b64_tr_b8 a[128:129], v15 offset:3072              // 000000005C78: DBC40C00 8000000F
	ds_read_b64_tr_b8 a[130:131], v16 offset:3072              // 000000005C80: DBC40C00 82000010
	ds_read_b64_tr_b8 a[132:133], v15 offset:21504             // 000000005C88: DBC45400 8400000F
	ds_read_b64_tr_b8 a[134:135], v16 offset:21504             // 000000005C90: DBC45400 86000010
	buffer_load_dwordx4 v217, s[20:23], 0 offen offset:512 lds // 000000005C98: E05D1200 800500D9
	s_add_i32 m0, m0, 0x3c0                                    // 000000005CA0: 817CFF7C 000003C0
	s_addk_i32 s70, 0x1                                        // 000000005CA8: B7460001
	s_cmp_lt_i32 s70, s71                                      // 000000005CAC: BF044746
	s_cbranch_scc0 label_3174                                  // 000000005CB0: BF84FE30
	v_mul_u32_u24_e64 v217, v31, s68                           // 000000005CB4: D10800D9 0000891F
	v_add_u32_e32 v217, v217, v1                               // 000000005CBC: 69B203D9
	s_waitcnt vmcnt(10)                                        // 000000005CC0: BF8C0F7A
	s_barrier                                                  // 000000005CC4: BF8A0000
	s_waitcnt lgkmcnt(8)                                       // 000000005CC8: BF8CC87F
	v_mfma_f32_32x32x64_f8f6f4 v[76:91], a[72:79], v[60:67], v[76:91]// 000000005CCC: D3AE004C 0D327948
	v_mov_b32_e32 v213, v44                                    // 000000005CD4: 7FAA032C
	v_max3_f32 v213, v44, v45, v213                            // 000000005CD8: D1D300D5 07565B2C
	v_max3_f32 v213, v46, v47, v213                            // 000000005CE0: D1D300D5 07565F2E
	v_max3_f32 v213, v48, v49, v213                            // 000000005CE8: D1D300D5 07566330
	v_max3_f32 v213, v50, v51, v213                            // 000000005CF0: D1D300D5 07566732
	v_max3_f32 v213, v52, v53, v213                            // 000000005CF8: D1D300D5 07566B34
	v_max3_f32 v213, v54, v55, v213                            // 000000005D00: D1D300D5 07566F36
	v_max3_f32 v213, v56, v57, v213                            // 000000005D08: D1D300D5 07567338
	v_max3_f32 v213, v58, v59, v213                            // 000000005D10: D1D300D5 0756773A
	v_mov_b32_e32 v35, v213                                    // 000000005D18: 7E4603D5
	v_mov_b32_e32 v36, v213                                    // 000000005D1C: 7E4803D5
	s_nop 0                                                    // 000000005D20: BF800000
	ds_read_b128 a[72:75], v22                                 // 000000005D24: DBFE0000 48000016
	ds_read_b128 a[76:79], v23                                 // 000000005D2C: DBFE0000 4C000017
	v_mfma_f32_32x32x64_f8f6f4 v[92:107], a[80:87], v[60:67], v[92:107]// 000000005D34: D3AE005C 0D727950
	v_permlane32_swap_b32_e32 v35, v36                         // 000000005D3C: 7E46B524
	v_max3_f32 v213, v35, v36, v213                            // 000000005D40: D1D300D5 07564923
	ds_write_b32 v41, v213                                     // 000000005D48: D81A0000 0000D529
	s_mov_b32 s56, 0x14000                                     // 000000005D50: BEB800FF 00014000
	s_mul_i32 s57, s7, 0x2400                                  // 000000005D58: 9239FF07 00002400
	s_add_u32 m0, s56, s57                                     // 000000005D60: 807C3938
	buffer_load_dwordx4 v217, s[20:23], 0 offen lds            // 000000005D64: E05D1000 800500D9
	s_add_i32 m0, m0, 0x3c0                                    // 000000005D6C: 817CFF7C 000003C0
	buffer_load_dwordx4 v217, s[20:23], 0 offen offset:64 lds  // 000000005D74: E05D1040 800500D9
	s_add_i32 m0, m0, 0x3c0                                    // 000000005D7C: 817CFF7C 000003C0
	s_waitcnt lgkmcnt(0)                                       // 000000005D84: BF8CC07F
	s_barrier                                                  // 000000005D88: BF8A0000
	v_mfma_f32_32x32x64_f8f6f4 v[108:123], a[88:95], v[60:67], v[108:123]// 000000005D8C: D3AE006C 0DB27958
	ds_read_b32 v35, v40                                       // 000000005D94: D86C0000 23000028
	ds_read_b32 v36, v40 offset:256                            // 000000005D9C: D86C0100 24000028
	s_waitcnt lgkmcnt(0)                                       // 000000005DA4: BF8CC07F
	v_max3_f32 v213, v35, v36, v213                            // 000000005DA8: D1D300D5 07564923
	v_mov_b32_e32 v35, 0xff800000                              // 000000005DB0: 7E4602FF FF800000
	v_cmp_eq_u32_e64 s[36:37], v35, v2                         // 000000005DB8: D0CA0024 00020523
	v_max_f32_e32 v216, v213, v2                               // 000000005DC0: 17B005D5
	v_sub_f32_e32 v21, v2, v216                                // 000000005DC4: 042BB102
	v_cndmask_b32_e64 v21, v21, 0, s[36:37]                    // 000000005DC8: D1000015 00910115
	v_mfma_f32_32x32x64_f8f6f4 v[124:139], a[96:103], v[60:67], v[124:139]// 000000005DD0: D3AE007C 0DF27960
	ds_read_b128 a[80:83], v22 offset:1024                     // 000000005DD8: DBFE0400 50000016
	ds_read_b128 a[84:87], v23 offset:1024                     // 000000005DE0: DBFE0400 54000017
	ds_read_b128 a[88:91], v22 offset:2048                     // 000000005DE8: DBFE0800 58000016
	ds_read_b128 a[92:95], v23 offset:2048                     // 000000005DF0: DBFE0800 5C000017
	ds_read_b128 a[96:99], v22 offset:3072                     // 000000005DF8: DBFE0C00 60000016
	ds_read_b128 a[100:103], v23 offset:3072                   // 000000005E00: DBFE0C00 64000017
	v_mov_b32_e32 v2, v216                                     // 000000005E08: 7E0403D8
	v_mul_f32_e32 v212, s5, v216                               // 000000005E0C: 0BA9B005
	v_mul_f32_e32 v21, s5, v21                                 // 000000005E10: 0A2A2A05
	v_exp_f32_e32 v21, v21                                     // 000000005E14: 7E2A4115
	v_fma_f32 v44, v44, s5, -v212                              // 000000005E18: D1CB002C 87500B2C
	v_fma_f32 v45, v45, s5, -v212                              // 000000005E20: D1CB002D 87500B2D
	v_fma_f32 v46, v46, s5, -v212                              // 000000005E28: D1CB002E 87500B2E
	v_fma_f32 v47, v47, s5, -v212                              // 000000005E30: D1CB002F 87500B2F
	v_fma_f32 v48, v48, s5, -v212                              // 000000005E38: D1CB0030 87500B30
	v_mfma_f32_32x32x64_f8f6f4 v[140:155], a[104:111], v[60:67], v[140:155]// 000000005E40: D3AE008C 0E327968
	buffer_load_dwordx4 v217, s[20:23], 0 offen offset:128 lds // 000000005E48: E05D1080 800500D9
	s_add_i32 m0, m0, 0x3c0                                    // 000000005E50: 817CFF7C 000003C0
	v_fma_f32 v49, v49, s5, -v212                              // 000000005E58: D1CB0031 87500B31
	v_fma_f32 v50, v50, s5, -v212                              // 000000005E60: D1CB0032 87500B32
	v_fma_f32 v51, v51, s5, -v212                              // 000000005E68: D1CB0033 87500B33
	v_fma_f32 v52, v52, s5, -v212                              // 000000005E70: D1CB0034 87500B34
	v_fma_f32 v53, v53, s5, -v212                              // 000000005E78: D1CB0035 87500B35
	v_fma_f32 v54, v54, s5, -v212                              // 000000005E80: D1CB0036 87500B36
	v_fma_f32 v55, v55, s5, -v212                              // 000000005E88: D1CB0037 87500B37
	v_fma_f32 v56, v56, s5, -v212                              // 000000005E90: D1CB0038 87500B38
	v_fma_f32 v57, v57, s5, -v212                              // 000000005E98: D1CB0039 87500B39
	v_fma_f32 v58, v58, s5, -v212                              // 000000005EA0: D1CB003A 87500B3A
	v_fma_f32 v59, v59, s5, -v212                              // 000000005EA8: D1CB003B 87500B3B
	v_exp_f32_e32 v44, v44                                     // 000000005EB0: 7E58412C
	v_exp_f32_e32 v45, v45                                     // 000000005EB4: 7E5A412D
	v_mfma_f32_32x32x64_f8f6f4 v[156:171], a[112:119], v[60:67], v[156:171]// 000000005EB8: D3AE009C 0E727970
	ds_read_b128 a[104:107], v22 offset:4096                   // 000000005EC0: DBFE1000 68000016
	ds_read_b128 a[108:111], v23 offset:4096                   // 000000005EC8: DBFE1000 6C000017
	ds_read_b128 a[112:115], v22 offset:5120                   // 000000005ED0: DBFE1400 70000016
	ds_read_b128 a[116:119], v23 offset:5120                   // 000000005ED8: DBFE1400 74000017
	ds_read_b128 a[120:123], v22 offset:6144                   // 000000005EE0: DBFE1800 78000016
	ds_read_b128 a[124:127], v23 offset:6144                   // 000000005EE8: DBFE1800 7C000017
	v_exp_f32_e32 v46, v46                                     // 000000005EF0: 7E5C412E
	v_exp_f32_e32 v47, v47                                     // 000000005EF4: 7E5E412F
	v_exp_f32_e32 v48, v48                                     // 000000005EF8: 7E604130
	v_exp_f32_e32 v49, v49                                     // 000000005EFC: 7E624131
	v_exp_f32_e32 v50, v50                                     // 000000005F00: 7E644132
	v_mfma_f32_32x32x64_f8f6f4 v[172:187], a[120:127], v[60:67], v[172:187]// 000000005F04: D3AE00AC 0EB27978
	buffer_load_dwordx4 v217, s[20:23], 0 offen offset:192 lds // 000000005F0C: E05D10C0 800500D9
	s_add_i32 m0, m0, 0x3c0                                    // 000000005F14: 817CFF7C 000003C0
	v_exp_f32_e32 v51, v51                                     // 000000005F1C: 7E664133
	v_exp_f32_e32 v52, v52                                     // 000000005F20: 7E684134
	v_exp_f32_e32 v53, v53                                     // 000000005F24: 7E6A4135
	v_exp_f32_e32 v54, v54                                     // 000000005F28: 7E6C4136
	v_exp_f32_e32 v55, v55                                     // 000000005F2C: 7E6E4137
	v_exp_f32_e32 v56, v56                                     // 000000005F30: 7E704138
	v_exp_f32_e32 v57, v57                                     // 000000005F34: 7E724139
	v_mfma_f32_32x32x64_f8f6f4 v[188:203], a[128:135], v[60:67], v[188:203]// 000000005F38: D3AE00BC 0EF27980
	v_exp_f32_e32 v58, v58                                     // 000000005F40: 7E74413A
	v_exp_f32_e32 v59, v59                                     // 000000005F44: 7E76413B
	v_mul_f32_e32 v4, v21, v4                                  // 000000005F48: 0A080915
	v_mov_b32_e32 v35, v44                                     // 000000005F4C: 7E46032C
	v_add_f32_e32 v35, v45, v35                                // 000000005F50: 0246472D
	v_add_f32_e32 v35, v46, v35                                // 000000005F54: 0246472E
	v_add_f32_e32 v35, v47, v35                                // 000000005F58: 0246472F
	v_add_f32_e32 v35, v48, v35                                // 000000005F5C: 02464730
	ds_read_b128 a[128:131], v22 offset:7168                   // 000000005F60: DBFE1C00 80000016
	ds_read_b128 a[132:135], v23 offset:7168                   // 000000005F68: DBFE1C00 84000017
	ds_read_b128 a[136:139], v22 offset:8192                   // 000000005F70: DBFE2000 88000016
	ds_read_b128 a[140:143], v23 offset:8192                   // 000000005F78: DBFE2000 8C000017
	v_add_f32_e32 v35, v49, v35                                // 000000005F80: 02464731
	v_add_f32_e32 v35, v50, v35                                // 000000005F84: 02464732
	v_add_f32_e32 v35, v51, v35                                // 000000005F88: 02464733
	v_add_f32_e32 v35, v52, v35                                // 000000005F8C: 02464734
	v_add_f32_e32 v35, v53, v35                                // 000000005F90: 02464735
	v_add_f32_e32 v35, v54, v35                                // 000000005F94: 02464736
	v_add_f32_e32 v35, v55, v35                                // 000000005F98: 02464737
	v_add_f32_e32 v35, v56, v35                                // 000000005F9C: 02464738
	v_add_f32_e32 v35, v57, v35                                // 000000005FA0: 02464739
	v_add_f32_e32 v35, v58, v35                                // 000000005FA4: 0246473A
	v_add_f32_e32 v35, v59, v35                                // 000000005FA8: 0246473B
	v_add_f32_e32 v4, v35, v4                                  // 000000005FAC: 02080923
	v_cvt_pk_fp8_f32 v44, v44, v45                             // 000000005FB0: D2A2002C 00025B2C
	v_cvt_pk_fp8_f32 v44, v46, v47 op_sel:[0,0,1]              // 000000005FB8: D2A2402C 00025F2E
	v_cvt_pk_fp8_f32 v45, v48, v49                             // 000000005FC0: D2A2002D 00026330
	v_cvt_pk_fp8_f32 v45, v50, v51 op_sel:[0,0,1]              // 000000005FC8: D2A2402D 00026732
	v_cvt_pk_fp8_f32 v46, v52, v53                             // 000000005FD0: D2A2002E 00026B34
	v_cvt_pk_fp8_f32 v46, v54, v55 op_sel:[0,0,1]              // 000000005FD8: D2A2402E 00026F36
	v_cvt_pk_fp8_f32 v47, v56, v57                             // 000000005FE0: D2A2002F 00027338
	v_cvt_pk_fp8_f32 v47, v58, v59 op_sel:[0,0,1]              // 000000005FE8: D2A2402F 0002773A
	s_waitcnt lgkmcnt(8)                                       // 000000005FF0: BF8CC87F
	v_mfma_f32_32x32x64_f8f6f4 v[60:75], a[72:79], a[0:7], 0   // 000000005FF4: D3AE003C 1A020148
	ds_write_b128 v43, v[44:47] offset:1024                    // 000000005FFC: D9BE0400 00002C2B
	v_mul_f32_e32 v76, v21, v76                                // 000000006004: 0A989915
	v_mul_f32_e32 v77, v21, v77                                // 000000006008: 0A9A9B15
	v_mul_f32_e32 v78, v21, v78                                // 00000000600C: 0A9C9D15
	v_mul_f32_e32 v79, v21, v79                                // 000000006010: 0A9E9F15
	v_mul_f32_e32 v80, v21, v80                                // 000000006014: 0AA0A115
	v_mul_f32_e32 v81, v21, v81                                // 000000006018: 0AA2A315
	v_mul_f32_e32 v82, v21, v82                                // 00000000601C: 0AA4A515
	v_mul_f32_e32 v83, v21, v83                                // 000000006020: 0AA6A715
	v_mul_f32_e32 v84, v21, v84                                // 000000006024: 0AA8A915
	v_mul_f32_e32 v85, v21, v85                                // 000000006028: 0AAAAB15
	v_mul_f32_e32 v86, v21, v86                                // 00000000602C: 0AACAD15
	v_mul_f32_e32 v87, v21, v87                                // 000000006030: 0AAEAF15
	v_mul_f32_e32 v88, v21, v88                                // 000000006034: 0AB0B115
	v_mul_f32_e32 v89, v21, v89                                // 000000006038: 0AB2B315
	v_mfma_f32_32x32x64_f8f6f4 v[60:75], a[80:87], a[8:15], v[60:75]// 00000000603C: D3AE003C 1CF21150
	buffer_load_dword v33, v34, s[24:27], 0 offen              // 000000006044: E0501000 80062122
	buffer_load_dwordx4 v217, s[20:23], 0 offen offset:256 lds // 00000000604C: E05D1100 800500D9
	s_add_i32 m0, m0, 0x3c0                                    // 000000006054: 817CFF7C 000003C0
	v_mul_f32_e32 v90, v21, v90                                // 00000000605C: 0AB4B515
	v_mul_f32_e32 v91, v21, v91                                // 000000006060: 0AB6B715
	v_mul_f32_e32 v92, v21, v92                                // 000000006064: 0AB8B915
	v_mul_f32_e32 v93, v21, v93                                // 000000006068: 0ABABB15
	v_mul_f32_e32 v94, v21, v94                                // 00000000606C: 0ABCBD15
	v_mul_f32_e32 v95, v21, v95                                // 000000006070: 0ABEBF15
	v_mov_b32_e32 v36, v21                                     // 000000006074: 7E480315
	v_mov_b32_e32 v37, v21                                     // 000000006078: 7E4A0315
	v_pk_mul_f32 v[140:141], v[36:37], v[140:141]              // 00000000607C: D3B1408C 18031924
	v_pk_mul_f32 v[142:143], v[36:37], v[142:143]              // 000000006084: D3B1408E 18031D24
	s_waitcnt lgkmcnt(0)                                       // 00000000608C: BF8CC07F
	s_barrier                                                  // 000000006090: BF8A0000
	v_mfma_f32_32x32x64_f8f6f4 v[60:75], a[88:95], a[16:23], v[60:75]// 000000006094: D3AE003C 1CF22158
	ds_read_b128 v[44:47], v42 offset:1024                     // 00000000609C: D9FE0400 2C00002A
	ds_read_b128 v[48:51], v42 offset:2048                     // 0000000060A4: D9FE0800 3000002A
	ds_read_b64_tr_b8 a[72:73], v17                            // 0000000060AC: DBC40000 48000011
	ds_read_b64_tr_b8 a[74:75], v18                            // 0000000060B4: DBC40000 4A000012
	ds_read_b64_tr_b8 a[76:77], v17 offset:18432               // 0000000060BC: DBC44800 4C000011
	ds_read_b64_tr_b8 a[78:79], v18 offset:18432               // 0000000060C4: DBC44800 4E000012
	ds_read_b64_tr_b8 a[80:81], v19                            // 0000000060CC: DBC40000 50000013
	ds_read_b64_tr_b8 a[82:83], v20                            // 0000000060D4: DBC40000 52000014
	ds_read_b64_tr_b8 a[84:85], v19 offset:18432               // 0000000060DC: DBC44800 54000013
	ds_read_b64_tr_b8 a[86:87], v20 offset:18432               // 0000000060E4: DBC44800 56000014
	v_mul_f32_e32 v96, v21, v96                                // 0000000060EC: 0AC0C115
	v_mul_f32_e32 v97, v21, v97                                // 0000000060F0: 0AC2C315
	v_mul_f32_e32 v98, v21, v98                                // 0000000060F4: 0AC4C515
	v_mul_f32_e32 v99, v21, v99                                // 0000000060F8: 0AC6C715
	v_mul_f32_e32 v100, v21, v100                              // 0000000060FC: 0AC8C915
	v_mul_f32_e32 v101, v21, v101                              // 000000006100: 0ACACB15
	v_mul_f32_e32 v102, v21, v102                              // 000000006104: 0ACCCD15
	v_mul_f32_e32 v103, v21, v103                              // 000000006108: 0ACECF15
	v_mul_f32_e32 v104, v21, v104                              // 00000000610C: 0AD0D115
	v_mul_f32_e32 v105, v21, v105                              // 000000006110: 0AD2D315
	v_mul_f32_e32 v106, v21, v106                              // 000000006114: 0AD4D515
	v_mul_f32_e32 v107, v21, v107                              // 000000006118: 0AD6D715
	v_add_u32_e32 v34, s73, v34                                // 00000000611C: 68444449
	v_mfma_f32_32x32x64_f8f6f4 v[60:75], a[96:103], a[24:31], v[60:75]// 000000006120: D3AE003C 1CF23160
	buffer_load_dwordx4 v217, s[20:23], 0 offen offset:320 lds // 000000006128: E05D1140 800500D9
	s_add_i32 m0, m0, 0x3c0                                    // 000000006130: 817CFF7C 000003C0
	v_mul_f32_e32 v108, v21, v108                              // 000000006138: 0AD8D915
	v_mul_f32_e32 v109, v21, v109                              // 00000000613C: 0ADADB15
	v_mul_f32_e32 v110, v21, v110                              // 000000006140: 0ADCDD15
	v_mul_f32_e32 v111, v21, v111                              // 000000006144: 0ADEDF15
	v_mul_f32_e32 v112, v21, v112                              // 000000006148: 0AE0E115
	v_mul_f32_e32 v113, v21, v113                              // 00000000614C: 0AE2E315
	v_mul_f32_e32 v114, v21, v114                              // 000000006150: 0AE4E515
	v_mul_f32_e32 v115, v21, v115                              // 000000006154: 0AE6E715
	v_mul_f32_e32 v116, v21, v116                              // 000000006158: 0AE8E915
	v_mul_f32_e32 v117, v21, v117                              // 00000000615C: 0AEAEB15
	v_mul_f32_e32 v118, v21, v118                              // 000000006160: 0AECED15
	v_mul_f32_e32 v119, v21, v119                              // 000000006164: 0AEEEF15
	v_mfma_f32_32x32x64_f8f6f4 v[60:75], a[104:111], a[32:39], v[60:75]// 000000006168: D3AE003C 1CF24168
	ds_read_b64_tr_b8 a[88:89], v17 offset:1024                // 000000006170: DBC40400 58000011
	ds_read_b64_tr_b8 a[90:91], v18 offset:1024                // 000000006178: DBC40400 5A000012
	ds_read_b64_tr_b8 a[92:93], v17 offset:19456               // 000000006180: DBC44C00 5C000011
	ds_read_b64_tr_b8 a[94:95], v18 offset:19456               // 000000006188: DBC44C00 5E000012
	ds_read_b64_tr_b8 a[96:97], v19 offset:1024                // 000000006190: DBC40400 60000013
	ds_read_b64_tr_b8 a[98:99], v20 offset:1024                // 000000006198: DBC40400 62000014
	ds_read_b64_tr_b8 a[100:101], v19 offset:19456             // 0000000061A0: DBC44C00 64000013
	ds_read_b64_tr_b8 a[102:103], v20 offset:19456             // 0000000061A8: DBC44C00 66000014
	v_mul_f32_e32 v120, v21, v120                              // 0000000061B0: 0AF0F115
	v_mul_f32_e32 v121, v21, v121                              // 0000000061B4: 0AF2F315
	v_mul_f32_e32 v122, v21, v122                              // 0000000061B8: 0AF4F515
	v_mul_f32_e32 v123, v21, v123                              // 0000000061BC: 0AF6F715
	v_mul_f32_e32 v124, v21, v124                              // 0000000061C0: 0AF8F915
	v_mul_f32_e32 v125, v21, v125                              // 0000000061C4: 0AFAFB15
	v_mul_f32_e32 v126, v21, v126                              // 0000000061C8: 0AFCFD15
	v_mul_f32_e32 v127, v21, v127                              // 0000000061CC: 0AFEFF15
	v_mul_f32_e32 v128, v21, v128                              // 0000000061D0: 0B010115
	v_mul_f32_e32 v129, v21, v129                              // 0000000061D4: 0B030315
	v_mul_f32_e32 v130, v21, v130                              // 0000000061D8: 0B050515
	v_mul_f32_e32 v131, v21, v131                              // 0000000061DC: 0B070715
	v_mfma_f32_32x32x64_f8f6f4 v[60:75], a[112:119], a[40:47], v[60:75]// 0000000061E0: D3AE003C 1CF25170
	s_waitcnt lgkmcnt(0)                                       // 0000000061E8: BF8CC07F
	buffer_load_dwordx4 v217, s[20:23], 0 offen offset:384 lds // 0000000061EC: E05D1180 800500D9
	s_add_i32 m0, m0, 0x3c0                                    // 0000000061F4: 817CFF7C 000003C0
	v_mul_f32_e32 v132, v21, v132                              // 0000000061FC: 0B090915
	v_mul_f32_e32 v133, v21, v133                              // 000000006200: 0B0B0B15
	v_mul_f32_e32 v134, v21, v134                              // 000000006204: 0B0D0D15
	v_mul_f32_e32 v135, v21, v135                              // 000000006208: 0B0F0F15
	v_mul_f32_e32 v136, v21, v136                              // 00000000620C: 0B111115
	v_mul_f32_e32 v137, v21, v137                              // 000000006210: 0B131315
	v_mul_f32_e32 v138, v21, v138                              // 000000006214: 0B151515
	v_mul_f32_e32 v139, v21, v139                              // 000000006218: 0B171715
	v_mfma_f32_32x32x64_f8f6f4 v[60:75], a[120:127], a[48:55], v[60:75]// 00000000621C: D3AE003C 1CF26178
	ds_read_b64_tr_b8 a[104:105], v17 offset:2048              // 000000006224: DBC40800 68000011
	ds_read_b64_tr_b8 a[106:107], v18 offset:2048              // 00000000622C: DBC40800 6A000012
	ds_read_b64_tr_b8 a[108:109], v17 offset:20480             // 000000006234: DBC45000 6C000011
	ds_read_b64_tr_b8 a[110:111], v18 offset:20480             // 00000000623C: DBC45000 6E000012
	ds_read_b64_tr_b8 a[112:113], v19 offset:2048              // 000000006244: DBC40800 70000013
	ds_read_b64_tr_b8 a[114:115], v20 offset:2048              // 00000000624C: DBC40800 72000014
	ds_read_b64_tr_b8 a[116:117], v19 offset:20480             // 000000006254: DBC45000 74000013
	ds_read_b64_tr_b8 a[118:119], v20 offset:20480             // 00000000625C: DBC45000 76000014
	v_permlane32_swap_b32_e32 v44, v46                         // 000000006264: 7E58B52E
	v_permlane32_swap_b32_e32 v45, v47                         // 000000006268: 7E5AB52F
	v_swap_b32 v45, v46                                        // 00000000626C: 7E5AA32E
	v_permlane32_swap_b32_e32 v48, v50                         // 000000006270: 7E60B532
	v_permlane32_swap_b32_e32 v49, v51                         // 000000006274: 7E62B533
	v_swap_b32 v49, v50                                        // 000000006278: 7E62A332
	v_mfma_f32_32x32x64_f8f6f4 v[60:75], a[128:135], a[56:63], v[60:75]// 00000000627C: D3AE003C 1CF27180
	buffer_load_dwordx4 v217, s[20:23], 0 offen offset:448 lds // 000000006284: E05D11C0 800500D9
	s_add_i32 m0, m0, 0x3c0                                    // 00000000628C: 817CFF7C 000003C0
	v_pk_mul_f32 v[144:145], v[36:37], v[144:145]              // 000000006294: D3B14090 18032124
	v_pk_mul_f32 v[146:147], v[36:37], v[146:147]              // 00000000629C: D3B14092 18032524
	v_pk_mul_f32 v[148:149], v[36:37], v[148:149]              // 0000000062A4: D3B14094 18032924
	v_pk_mul_f32 v[150:151], v[36:37], v[150:151]              // 0000000062AC: D3B14096 18032D24
	v_pk_mul_f32 v[152:153], v[36:37], v[152:153]              // 0000000062B4: D3B14098 18033124
	v_pk_mul_f32 v[154:155], v[36:37], v[154:155]              // 0000000062BC: D3B1409A 18033524
	v_pk_mul_f32 v[156:157], v[36:37], v[156:157]              // 0000000062C4: D3B1409C 18033924
	v_pk_mul_f32 v[158:159], v[36:37], v[158:159]              // 0000000062CC: D3B1409E 18033D24
	v_pk_mul_f32 v[160:161], v[36:37], v[160:161]              // 0000000062D4: D3B140A0 18034124
	v_pk_mul_f32 v[162:163], v[36:37], v[162:163]              // 0000000062DC: D3B140A2 18034524
	v_pk_mul_f32 v[164:165], v[36:37], v[164:165]              // 0000000062E4: D3B140A4 18034924
	v_pk_mul_f32 v[166:167], v[36:37], v[166:167]              // 0000000062EC: D3B140A6 18034D24
	v_pk_mul_f32 v[168:169], v[36:37], v[168:169]              // 0000000062F4: D3B140A8 18035124
	v_pk_mul_f32 v[170:171], v[36:37], v[170:171]              // 0000000062FC: D3B140AA 18035524
	v_pk_mul_f32 v[172:173], v[36:37], v[172:173]              // 000000006304: D3B140AC 18035924
	v_pk_mul_f32 v[174:175], v[36:37], v[174:175]              // 00000000630C: D3B140AE 18035D24
	v_pk_mul_f32 v[176:177], v[36:37], v[176:177]              // 000000006314: D3B140B0 18036124
	v_pk_mul_f32 v[178:179], v[36:37], v[178:179]              // 00000000631C: D3B140B2 18036524
	v_pk_mul_f32 v[180:181], v[36:37], v[180:181]              // 000000006324: D3B140B4 18036924
	v_pk_mul_f32 v[182:183], v[36:37], v[182:183]              // 00000000632C: D3B140B6 18036D24
	v_pk_mul_f32 v[184:185], v[36:37], v[184:185]              // 000000006334: D3B140B8 18037124
	v_pk_mul_f32 v[186:187], v[36:37], v[186:187]              // 00000000633C: D3B140BA 18037524
	v_pk_mul_f32 v[188:189], v[36:37], v[188:189]              // 000000006344: D3B140BC 18037924
	v_pk_mul_f32 v[190:191], v[36:37], v[190:191]              // 00000000634C: D3B140BE 18037D24
	v_pk_mul_f32 v[192:193], v[36:37], v[192:193]              // 000000006354: D3B140C0 18038124
	v_pk_mul_f32 v[194:195], v[36:37], v[194:195]              // 00000000635C: D3B140C2 18038524
	v_pk_mul_f32 v[196:197], v[36:37], v[196:197]              // 000000006364: D3B140C4 18038924
	v_pk_mul_f32 v[198:199], v[36:37], v[198:199]              // 00000000636C: D3B140C6 18038D24
	v_pk_mul_f32 v[200:201], v[36:37], v[200:201]              // 000000006374: D3B140C8 18039124
	v_pk_mul_f32 v[202:203], v[36:37], v[202:203]              // 00000000637C: D3B140CA 18039524
	v_mfma_f32_32x32x64_f8f6f4 v[60:75], a[136:143], a[64:71], v[60:75]// 000000006384: D3AE003C 1CF28188
	ds_read_b64_tr_b8 a[120:121], v17 offset:3072              // 00000000638C: DBC40C00 78000011
	ds_read_b64_tr_b8 a[122:123], v18 offset:3072              // 000000006394: DBC40C00 7A000012
	ds_read_b64_tr_b8 a[124:125], v17 offset:21504             // 00000000639C: DBC45400 7C000011
	ds_read_b64_tr_b8 a[126:127], v18 offset:21504             // 0000000063A4: DBC45400 7E000012
	ds_read_b64_tr_b8 a[128:129], v19 offset:3072              // 0000000063AC: DBC40C00 80000013
	ds_read_b64_tr_b8 a[130:131], v20 offset:3072              // 0000000063B4: DBC40C00 82000014
	ds_read_b64_tr_b8 a[132:133], v19 offset:21504             // 0000000063BC: DBC45400 84000013
	ds_read_b64_tr_b8 a[134:135], v20 offset:21504             // 0000000063C4: DBC45400 86000014
	buffer_load_dwordx4 v217, s[20:23], 0 offen offset:512 lds // 0000000063CC: E05D1200 800500D9
	s_add_i32 m0, m0, 0x3c0                                    // 0000000063D4: 817CFF7C 000003C0
	s_addk_i32 s70, 0x1                                        // 0000000063DC: B7460001
	s_cmp_lt_i32 s70, s71                                      // 0000000063E0: BF044746
	s_cbranch_scc0 label_3174                                  // 0000000063E4: BF84FC63
	v_mul_u32_u24_e64 v217, v32, s68                           // 0000000063E8: D10800D9 00008920
	v_add_u32_e32 v217, v217, v1                               // 0000000063F0: 69B203D9
	s_waitcnt vmcnt(10)                                        // 0000000063F4: BF8C0F7A
	s_barrier                                                  // 0000000063F8: BF8A0000
	s_waitcnt lgkmcnt(8)                                       // 0000000063FC: BF8CC87F
	v_mfma_f32_32x32x64_f8f6f4 v[76:91], a[72:79], v[44:51], v[76:91]// 000000006400: D3AE004C 0D325948
	v_mov_b32_e32 v213, v60                                    // 000000006408: 7FAA033C
	v_max3_f32 v213, v60, v61, v213                            // 00000000640C: D1D300D5 07567B3C
	v_max3_f32 v213, v62, v63, v213                            // 000000006414: D1D300D5 07567F3E
	v_max3_f32 v213, v64, v65, v213                            // 00000000641C: D1D300D5 07568340
	v_max3_f32 v213, v66, v67, v213                            // 000000006424: D1D300D5 07568742
	v_max3_f32 v213, v68, v69, v213                            // 00000000642C: D1D300D5 07568B44
	v_max3_f32 v213, v70, v71, v213                            // 000000006434: D1D300D5 07568F46
	v_max3_f32 v213, v72, v73, v213                            // 00000000643C: D1D300D5 07569348
	v_max3_f32 v213, v74, v75, v213                            // 000000006444: D1D300D5 0756974A
	v_mov_b32_e32 v35, v213                                    // 00000000644C: 7E4603D5
	v_mov_b32_e32 v36, v213                                    // 000000006450: 7E4803D5
	s_nop 0                                                    // 000000006454: BF800000
	ds_read_b128 a[72:75], v24                                 // 000000006458: DBFE0000 48000018
	ds_read_b128 a[76:79], v25                                 // 000000006460: DBFE0000 4C000019
	v_mfma_f32_32x32x64_f8f6f4 v[92:107], a[80:87], v[44:51], v[92:107]// 000000006468: D3AE005C 0D725950
	v_permlane32_swap_b32_e32 v35, v36                         // 000000006470: 7E46B524
	v_max3_f32 v213, v35, v36, v213                            // 000000006474: D1D300D5 07564923
	ds_write_b32 v41, v213                                     // 00000000647C: D81A0000 0000D529
	s_mov_b32 s56, 0x1d000                                     // 000000006484: BEB800FF 0001D000
	s_mul_i32 s57, s7, 0x2400                                  // 00000000648C: 9239FF07 00002400
	s_add_u32 m0, s56, s57                                     // 000000006494: 807C3938
	buffer_load_dwordx4 v217, s[20:23], 0 offen lds            // 000000006498: E05D1000 800500D9
	s_add_i32 m0, m0, 0x3c0                                    // 0000000064A0: 817CFF7C 000003C0
	buffer_load_dwordx4 v217, s[20:23], 0 offen offset:64 lds  // 0000000064A8: E05D1040 800500D9
	s_add_i32 m0, m0, 0x3c0                                    // 0000000064B0: 817CFF7C 000003C0
	s_waitcnt lgkmcnt(0)                                       // 0000000064B8: BF8CC07F
	s_barrier                                                  // 0000000064BC: BF8A0000
	v_mfma_f32_32x32x64_f8f6f4 v[108:123], a[88:95], v[44:51], v[108:123]// 0000000064C0: D3AE006C 0DB25958
	ds_read_b32 v35, v40                                       // 0000000064C8: D86C0000 23000028
	ds_read_b32 v36, v40 offset:256                            // 0000000064D0: D86C0100 24000028
	s_waitcnt lgkmcnt(0)                                       // 0000000064D8: BF8CC07F
	v_max3_f32 v213, v35, v36, v213                            // 0000000064DC: D1D300D5 07564923
	v_mov_b32_e32 v35, 0xff800000                              // 0000000064E4: 7E4602FF FF800000
	v_cmp_eq_u32_e64 s[36:37], v35, v2                         // 0000000064EC: D0CA0024 00020523
	v_max_f32_e32 v216, v213, v2                               // 0000000064F4: 17B005D5
	v_sub_f32_e32 v21, v2, v216                                // 0000000064F8: 042BB102
	v_cndmask_b32_e64 v21, v21, 0, s[36:37]                    // 0000000064FC: D1000015 00910115
	v_mfma_f32_32x32x64_f8f6f4 v[124:139], a[96:103], v[44:51], v[124:139]// 000000006504: D3AE007C 0DF25960
	ds_read_b128 a[80:83], v24 offset:1024                     // 00000000650C: DBFE0400 50000018
	ds_read_b128 a[84:87], v25 offset:1024                     // 000000006514: DBFE0400 54000019
	ds_read_b128 a[88:91], v24 offset:2048                     // 00000000651C: DBFE0800 58000018
	ds_read_b128 a[92:95], v25 offset:2048                     // 000000006524: DBFE0800 5C000019
	ds_read_b128 a[96:99], v24 offset:3072                     // 00000000652C: DBFE0C00 60000018
	ds_read_b128 a[100:103], v25 offset:3072                   // 000000006534: DBFE0C00 64000019
	v_mov_b32_e32 v2, v216                                     // 00000000653C: 7E0403D8
	v_mul_f32_e32 v212, s5, v216                               // 000000006540: 0BA9B005
	v_mul_f32_e32 v21, s5, v21                                 // 000000006544: 0A2A2A05
	v_exp_f32_e32 v21, v21                                     // 000000006548: 7E2A4115
	v_fma_f32 v60, v60, s5, -v212                              // 00000000654C: D1CB003C 87500B3C
	v_fma_f32 v61, v61, s5, -v212                              // 000000006554: D1CB003D 87500B3D
	v_fma_f32 v62, v62, s5, -v212                              // 00000000655C: D1CB003E 87500B3E
	v_fma_f32 v63, v63, s5, -v212                              // 000000006564: D1CB003F 87500B3F
	v_fma_f32 v64, v64, s5, -v212                              // 00000000656C: D1CB0040 87500B40
	v_mfma_f32_32x32x64_f8f6f4 v[140:155], a[104:111], v[44:51], v[140:155]// 000000006574: D3AE008C 0E325968
	buffer_load_dwordx4 v217, s[20:23], 0 offen offset:128 lds // 00000000657C: E05D1080 800500D9
	s_add_i32 m0, m0, 0x3c0                                    // 000000006584: 817CFF7C 000003C0
	v_fma_f32 v65, v65, s5, -v212                              // 00000000658C: D1CB0041 87500B41
	v_fma_f32 v66, v66, s5, -v212                              // 000000006594: D1CB0042 87500B42
	v_fma_f32 v67, v67, s5, -v212                              // 00000000659C: D1CB0043 87500B43
	v_fma_f32 v68, v68, s5, -v212                              // 0000000065A4: D1CB0044 87500B44
	v_fma_f32 v69, v69, s5, -v212                              // 0000000065AC: D1CB0045 87500B45
	v_fma_f32 v70, v70, s5, -v212                              // 0000000065B4: D1CB0046 87500B46
	v_fma_f32 v71, v71, s5, -v212                              // 0000000065BC: D1CB0047 87500B47
	v_fma_f32 v72, v72, s5, -v212                              // 0000000065C4: D1CB0048 87500B48
	v_fma_f32 v73, v73, s5, -v212                              // 0000000065CC: D1CB0049 87500B49
	v_fma_f32 v74, v74, s5, -v212                              // 0000000065D4: D1CB004A 87500B4A
	v_fma_f32 v75, v75, s5, -v212                              // 0000000065DC: D1CB004B 87500B4B
	v_exp_f32_e32 v60, v60                                     // 0000000065E4: 7E78413C
	v_exp_f32_e32 v61, v61                                     // 0000000065E8: 7E7A413D
	v_mfma_f32_32x32x64_f8f6f4 v[156:171], a[112:119], v[44:51], v[156:171]// 0000000065EC: D3AE009C 0E725970
	ds_read_b128 a[104:107], v24 offset:4096                   // 0000000065F4: DBFE1000 68000018
	ds_read_b128 a[108:111], v25 offset:4096                   // 0000000065FC: DBFE1000 6C000019
	ds_read_b128 a[112:115], v24 offset:5120                   // 000000006604: DBFE1400 70000018
	ds_read_b128 a[116:119], v25 offset:5120                   // 00000000660C: DBFE1400 74000019
	ds_read_b128 a[120:123], v24 offset:6144                   // 000000006614: DBFE1800 78000018
	ds_read_b128 a[124:127], v25 offset:6144                   // 00000000661C: DBFE1800 7C000019
	v_exp_f32_e32 v62, v62                                     // 000000006624: 7E7C413E
	v_exp_f32_e32 v63, v63                                     // 000000006628: 7E7E413F
	v_exp_f32_e32 v64, v64                                     // 00000000662C: 7E804140
	v_exp_f32_e32 v65, v65                                     // 000000006630: 7E824141
	v_exp_f32_e32 v66, v66                                     // 000000006634: 7E844142
	v_mfma_f32_32x32x64_f8f6f4 v[172:187], a[120:127], v[44:51], v[172:187]// 000000006638: D3AE00AC 0EB25978
	buffer_load_dwordx4 v217, s[20:23], 0 offen offset:192 lds // 000000006640: E05D10C0 800500D9
	s_add_i32 m0, m0, 0x3c0                                    // 000000006648: 817CFF7C 000003C0
	v_exp_f32_e32 v67, v67                                     // 000000006650: 7E864143
	v_exp_f32_e32 v68, v68                                     // 000000006654: 7E884144
	v_exp_f32_e32 v69, v69                                     // 000000006658: 7E8A4145
	v_exp_f32_e32 v70, v70                                     // 00000000665C: 7E8C4146
	v_exp_f32_e32 v71, v71                                     // 000000006660: 7E8E4147
	v_exp_f32_e32 v72, v72                                     // 000000006664: 7E904148
	v_exp_f32_e32 v73, v73                                     // 000000006668: 7E924149
	v_mfma_f32_32x32x64_f8f6f4 v[188:203], a[128:135], v[44:51], v[188:203]// 00000000666C: D3AE00BC 0EF25980
	v_exp_f32_e32 v74, v74                                     // 000000006674: 7E94414A
	v_exp_f32_e32 v75, v75                                     // 000000006678: 7E96414B
	v_mul_f32_e32 v4, v21, v4                                  // 00000000667C: 0A080915
	v_mov_b32_e32 v35, v60                                     // 000000006680: 7E46033C
	v_add_f32_e32 v35, v61, v35                                // 000000006684: 0246473D
	v_add_f32_e32 v35, v62, v35                                // 000000006688: 0246473E
	v_add_f32_e32 v35, v63, v35                                // 00000000668C: 0246473F
	v_add_f32_e32 v35, v64, v35                                // 000000006690: 02464740
	ds_read_b128 a[128:131], v24 offset:7168                   // 000000006694: DBFE1C00 80000018
	ds_read_b128 a[132:135], v25 offset:7168                   // 00000000669C: DBFE1C00 84000019
	ds_read_b128 a[136:139], v24 offset:8192                   // 0000000066A4: DBFE2000 88000018
	ds_read_b128 a[140:143], v25 offset:8192                   // 0000000066AC: DBFE2000 8C000019
	v_add_f32_e32 v35, v65, v35                                // 0000000066B4: 02464741
	v_add_f32_e32 v35, v66, v35                                // 0000000066B8: 02464742
	v_add_f32_e32 v35, v67, v35                                // 0000000066BC: 02464743
	v_add_f32_e32 v35, v68, v35                                // 0000000066C0: 02464744
	v_add_f32_e32 v35, v69, v35                                // 0000000066C4: 02464745
	v_add_f32_e32 v35, v70, v35                                // 0000000066C8: 02464746
	v_add_f32_e32 v35, v71, v35                                // 0000000066CC: 02464747
	v_add_f32_e32 v35, v72, v35                                // 0000000066D0: 02464748
	v_add_f32_e32 v35, v73, v35                                // 0000000066D4: 02464749
	v_add_f32_e32 v35, v74, v35                                // 0000000066D8: 0246474A
	v_add_f32_e32 v35, v75, v35                                // 0000000066DC: 0246474B
	v_add_f32_e32 v4, v35, v4                                  // 0000000066E0: 02080923
	v_cvt_pk_fp8_f32 v60, v60, v61                             // 0000000066E4: D2A2003C 00027B3C
	v_cvt_pk_fp8_f32 v60, v62, v63 op_sel:[0,0,1]              // 0000000066EC: D2A2403C 00027F3E
	v_cvt_pk_fp8_f32 v61, v64, v65                             // 0000000066F4: D2A2003D 00028340
	v_cvt_pk_fp8_f32 v61, v66, v67 op_sel:[0,0,1]              // 0000000066FC: D2A2403D 00028742
	v_cvt_pk_fp8_f32 v62, v68, v69                             // 000000006704: D2A2003E 00028B44
	v_cvt_pk_fp8_f32 v62, v70, v71 op_sel:[0,0,1]              // 00000000670C: D2A2403E 00028F46
	v_cvt_pk_fp8_f32 v63, v72, v73                             // 000000006714: D2A2003F 00029348
	v_cvt_pk_fp8_f32 v63, v74, v75 op_sel:[0,0,1]              // 00000000671C: D2A2403F 0002974A
	s_waitcnt lgkmcnt(8)                                       // 000000006724: BF8CC87F
	v_mfma_f32_32x32x64_f8f6f4 v[44:59], a[72:79], a[0:7], 0   // 000000006728: D3AE002C 1A020148
	ds_write_b128 v43, v[60:63] offset:1024                    // 000000006730: D9BE0400 00003C2B
	v_mul_f32_e32 v76, v21, v76                                // 000000006738: 0A989915
	v_mul_f32_e32 v77, v21, v77                                // 00000000673C: 0A9A9B15
	v_mul_f32_e32 v78, v21, v78                                // 000000006740: 0A9C9D15
	v_mul_f32_e32 v79, v21, v79                                // 000000006744: 0A9E9F15
	v_mul_f32_e32 v80, v21, v80                                // 000000006748: 0AA0A115
	v_mul_f32_e32 v81, v21, v81                                // 00000000674C: 0AA2A315
	v_mul_f32_e32 v82, v21, v82                                // 000000006750: 0AA4A515
	v_mul_f32_e32 v83, v21, v83                                // 000000006754: 0AA6A715
	v_mul_f32_e32 v84, v21, v84                                // 000000006758: 0AA8A915
	v_mul_f32_e32 v85, v21, v85                                // 00000000675C: 0AAAAB15
	v_mul_f32_e32 v86, v21, v86                                // 000000006760: 0AACAD15
	v_mul_f32_e32 v87, v21, v87                                // 000000006764: 0AAEAF15
	v_mul_f32_e32 v88, v21, v88                                // 000000006768: 0AB0B115
	v_mul_f32_e32 v89, v21, v89                                // 00000000676C: 0AB2B315
	v_mfma_f32_32x32x64_f8f6f4 v[44:59], a[80:87], a[8:15], v[44:59]// 000000006770: D3AE002C 1CB21150
	buffer_load_dword v30, v34, s[24:27], 0 offen              // 000000006778: E0501000 80061E22
	buffer_load_dwordx4 v217, s[20:23], 0 offen offset:256 lds // 000000006780: E05D1100 800500D9
	s_add_i32 m0, m0, 0x3c0                                    // 000000006788: 817CFF7C 000003C0
	v_mul_f32_e32 v90, v21, v90                                // 000000006790: 0AB4B515
	v_mul_f32_e32 v91, v21, v91                                // 000000006794: 0AB6B715
	v_mul_f32_e32 v92, v21, v92                                // 000000006798: 0AB8B915
	v_mul_f32_e32 v93, v21, v93                                // 00000000679C: 0ABABB15
	v_mul_f32_e32 v94, v21, v94                                // 0000000067A0: 0ABCBD15
	v_mul_f32_e32 v95, v21, v95                                // 0000000067A4: 0ABEBF15
	v_mov_b32_e32 v36, v21                                     // 0000000067A8: 7E480315
	v_mov_b32_e32 v37, v21                                     // 0000000067AC: 7E4A0315
	v_pk_mul_f32 v[140:141], v[36:37], v[140:141]              // 0000000067B0: D3B1408C 18031924
	v_pk_mul_f32 v[142:143], v[36:37], v[142:143]              // 0000000067B8: D3B1408E 18031D24
	s_waitcnt lgkmcnt(0)                                       // 0000000067C0: BF8CC07F
	s_barrier                                                  // 0000000067C4: BF8A0000
	v_mfma_f32_32x32x64_f8f6f4 v[44:59], a[88:95], a[16:23], v[44:59]// 0000000067C8: D3AE002C 1CB22158
	ds_read_b128 v[60:63], v42 offset:1024                     // 0000000067D0: D9FE0400 3C00002A
	ds_read_b128 v[64:67], v42 offset:2048                     // 0000000067D8: D9FE0800 4000002A
	ds_read_b64_tr_b8 a[72:73], v5                             // 0000000067E0: DBC40000 48000005
	ds_read_b64_tr_b8 a[74:75], v6                             // 0000000067E8: DBC40000 4A000006
	ds_read_b64_tr_b8 a[76:77], v5 offset:18432                // 0000000067F0: DBC44800 4C000005
	ds_read_b64_tr_b8 a[78:79], v6 offset:18432                // 0000000067F8: DBC44800 4E000006
	ds_read_b64_tr_b8 a[80:81], v7                             // 000000006800: DBC40000 50000007
	ds_read_b64_tr_b8 a[82:83], v8                             // 000000006808: DBC40000 52000008
	ds_read_b64_tr_b8 a[84:85], v7 offset:18432                // 000000006810: DBC44800 54000007
	ds_read_b64_tr_b8 a[86:87], v8 offset:18432                // 000000006818: DBC44800 56000008
	v_mul_f32_e32 v96, v21, v96                                // 000000006820: 0AC0C115
	v_mul_f32_e32 v97, v21, v97                                // 000000006824: 0AC2C315
	v_mul_f32_e32 v98, v21, v98                                // 000000006828: 0AC4C515
	v_mul_f32_e32 v99, v21, v99                                // 00000000682C: 0AC6C715
	v_mul_f32_e32 v100, v21, v100                              // 000000006830: 0AC8C915
	v_mul_f32_e32 v101, v21, v101                              // 000000006834: 0ACACB15
	v_mul_f32_e32 v102, v21, v102                              // 000000006838: 0ACCCD15
	v_mul_f32_e32 v103, v21, v103                              // 00000000683C: 0ACECF15
	v_mul_f32_e32 v104, v21, v104                              // 000000006840: 0AD0D115
	v_mul_f32_e32 v105, v21, v105                              // 000000006844: 0AD2D315
	v_mul_f32_e32 v106, v21, v106                              // 000000006848: 0AD4D515
	v_mul_f32_e32 v107, v21, v107                              // 00000000684C: 0AD6D715
	v_add_u32_e32 v34, s73, v34                                // 000000006850: 68444449
	v_mfma_f32_32x32x64_f8f6f4 v[44:59], a[96:103], a[24:31], v[44:59]// 000000006854: D3AE002C 1CB23160
	buffer_load_dwordx4 v217, s[20:23], 0 offen offset:320 lds // 00000000685C: E05D1140 800500D9
	s_add_i32 m0, m0, 0x3c0                                    // 000000006864: 817CFF7C 000003C0
	v_mul_f32_e32 v108, v21, v108                              // 00000000686C: 0AD8D915
	v_mul_f32_e32 v109, v21, v109                              // 000000006870: 0ADADB15
	v_mul_f32_e32 v110, v21, v110                              // 000000006874: 0ADCDD15
	v_mul_f32_e32 v111, v21, v111                              // 000000006878: 0ADEDF15
	v_mul_f32_e32 v112, v21, v112                              // 00000000687C: 0AE0E115
	v_mul_f32_e32 v113, v21, v113                              // 000000006880: 0AE2E315
	v_mul_f32_e32 v114, v21, v114                              // 000000006884: 0AE4E515
	v_mul_f32_e32 v115, v21, v115                              // 000000006888: 0AE6E715
	v_mul_f32_e32 v116, v21, v116                              // 00000000688C: 0AE8E915
	v_mul_f32_e32 v117, v21, v117                              // 000000006890: 0AEAEB15
	v_mul_f32_e32 v118, v21, v118                              // 000000006894: 0AECED15
	v_mul_f32_e32 v119, v21, v119                              // 000000006898: 0AEEEF15
	v_mfma_f32_32x32x64_f8f6f4 v[44:59], a[104:111], a[32:39], v[44:59]// 00000000689C: D3AE002C 1CB24168
	ds_read_b64_tr_b8 a[88:89], v5 offset:1024                 // 0000000068A4: DBC40400 58000005
	ds_read_b64_tr_b8 a[90:91], v6 offset:1024                 // 0000000068AC: DBC40400 5A000006
	ds_read_b64_tr_b8 a[92:93], v5 offset:19456                // 0000000068B4: DBC44C00 5C000005
	ds_read_b64_tr_b8 a[94:95], v6 offset:19456                // 0000000068BC: DBC44C00 5E000006
	ds_read_b64_tr_b8 a[96:97], v7 offset:1024                 // 0000000068C4: DBC40400 60000007
	ds_read_b64_tr_b8 a[98:99], v8 offset:1024                 // 0000000068CC: DBC40400 62000008
	ds_read_b64_tr_b8 a[100:101], v7 offset:19456              // 0000000068D4: DBC44C00 64000007
	ds_read_b64_tr_b8 a[102:103], v8 offset:19456              // 0000000068DC: DBC44C00 66000008
	v_mul_f32_e32 v120, v21, v120                              // 0000000068E4: 0AF0F115
	v_mul_f32_e32 v121, v21, v121                              // 0000000068E8: 0AF2F315
	v_mul_f32_e32 v122, v21, v122                              // 0000000068EC: 0AF4F515
	v_mul_f32_e32 v123, v21, v123                              // 0000000068F0: 0AF6F715
	v_mul_f32_e32 v124, v21, v124                              // 0000000068F4: 0AF8F915
	v_mul_f32_e32 v125, v21, v125                              // 0000000068F8: 0AFAFB15
	v_mul_f32_e32 v126, v21, v126                              // 0000000068FC: 0AFCFD15
	v_mul_f32_e32 v127, v21, v127                              // 000000006900: 0AFEFF15
	v_mul_f32_e32 v128, v21, v128                              // 000000006904: 0B010115
	v_mul_f32_e32 v129, v21, v129                              // 000000006908: 0B030315
	v_mul_f32_e32 v130, v21, v130                              // 00000000690C: 0B050515
	v_mul_f32_e32 v131, v21, v131                              // 000000006910: 0B070715
	v_mfma_f32_32x32x64_f8f6f4 v[44:59], a[112:119], a[40:47], v[44:59]// 000000006914: D3AE002C 1CB25170
	s_waitcnt lgkmcnt(0)                                       // 00000000691C: BF8CC07F
	buffer_load_dwordx4 v217, s[20:23], 0 offen offset:384 lds // 000000006920: E05D1180 800500D9
	s_add_i32 m0, m0, 0x3c0                                    // 000000006928: 817CFF7C 000003C0
	v_mul_f32_e32 v132, v21, v132                              // 000000006930: 0B090915
	v_mul_f32_e32 v133, v21, v133                              // 000000006934: 0B0B0B15
	v_mul_f32_e32 v134, v21, v134                              // 000000006938: 0B0D0D15
	v_mul_f32_e32 v135, v21, v135                              // 00000000693C: 0B0F0F15
	v_mul_f32_e32 v136, v21, v136                              // 000000006940: 0B111115
	v_mul_f32_e32 v137, v21, v137                              // 000000006944: 0B131315
	v_mul_f32_e32 v138, v21, v138                              // 000000006948: 0B151515
	v_mul_f32_e32 v139, v21, v139                              // 00000000694C: 0B171715
	v_mfma_f32_32x32x64_f8f6f4 v[44:59], a[120:127], a[48:55], v[44:59]// 000000006950: D3AE002C 1CB26178
	ds_read_b64_tr_b8 a[104:105], v5 offset:2048               // 000000006958: DBC40800 68000005
	ds_read_b64_tr_b8 a[106:107], v6 offset:2048               // 000000006960: DBC40800 6A000006
	ds_read_b64_tr_b8 a[108:109], v5 offset:20480              // 000000006968: DBC45000 6C000005
	ds_read_b64_tr_b8 a[110:111], v6 offset:20480              // 000000006970: DBC45000 6E000006
	ds_read_b64_tr_b8 a[112:113], v7 offset:2048               // 000000006978: DBC40800 70000007
	ds_read_b64_tr_b8 a[114:115], v8 offset:2048               // 000000006980: DBC40800 72000008
	ds_read_b64_tr_b8 a[116:117], v7 offset:20480              // 000000006988: DBC45000 74000007
	ds_read_b64_tr_b8 a[118:119], v8 offset:20480              // 000000006990: DBC45000 76000008
	v_permlane32_swap_b32_e32 v60, v62                         // 000000006998: 7E78B53E
	v_permlane32_swap_b32_e32 v61, v63                         // 00000000699C: 7E7AB53F
	v_swap_b32 v61, v62                                        // 0000000069A0: 7E7AA33E
	v_permlane32_swap_b32_e32 v64, v66                         // 0000000069A4: 7E80B542
	v_permlane32_swap_b32_e32 v65, v67                         // 0000000069A8: 7E82B543
	v_swap_b32 v65, v66                                        // 0000000069AC: 7E82A342
	v_mfma_f32_32x32x64_f8f6f4 v[44:59], a[128:135], a[56:63], v[44:59]// 0000000069B0: D3AE002C 1CB27180
	buffer_load_dwordx4 v217, s[20:23], 0 offen offset:448 lds // 0000000069B8: E05D11C0 800500D9
	s_add_i32 m0, m0, 0x3c0                                    // 0000000069C0: 817CFF7C 000003C0
	v_pk_mul_f32 v[144:145], v[36:37], v[144:145]              // 0000000069C8: D3B14090 18032124
	v_pk_mul_f32 v[146:147], v[36:37], v[146:147]              // 0000000069D0: D3B14092 18032524
	v_pk_mul_f32 v[148:149], v[36:37], v[148:149]              // 0000000069D8: D3B14094 18032924
	v_pk_mul_f32 v[150:151], v[36:37], v[150:151]              // 0000000069E0: D3B14096 18032D24
	v_pk_mul_f32 v[152:153], v[36:37], v[152:153]              // 0000000069E8: D3B14098 18033124
	v_pk_mul_f32 v[154:155], v[36:37], v[154:155]              // 0000000069F0: D3B1409A 18033524
	v_pk_mul_f32 v[156:157], v[36:37], v[156:157]              // 0000000069F8: D3B1409C 18033924
	v_pk_mul_f32 v[158:159], v[36:37], v[158:159]              // 000000006A00: D3B1409E 18033D24
	v_pk_mul_f32 v[160:161], v[36:37], v[160:161]              // 000000006A08: D3B140A0 18034124
	v_pk_mul_f32 v[162:163], v[36:37], v[162:163]              // 000000006A10: D3B140A2 18034524
	v_pk_mul_f32 v[164:165], v[36:37], v[164:165]              // 000000006A18: D3B140A4 18034924
	v_pk_mul_f32 v[166:167], v[36:37], v[166:167]              // 000000006A20: D3B140A6 18034D24
	v_pk_mul_f32 v[168:169], v[36:37], v[168:169]              // 000000006A28: D3B140A8 18035124
	v_pk_mul_f32 v[170:171], v[36:37], v[170:171]              // 000000006A30: D3B140AA 18035524
	v_pk_mul_f32 v[172:173], v[36:37], v[172:173]              // 000000006A38: D3B140AC 18035924
	v_pk_mul_f32 v[174:175], v[36:37], v[174:175]              // 000000006A40: D3B140AE 18035D24
	v_pk_mul_f32 v[176:177], v[36:37], v[176:177]              // 000000006A48: D3B140B0 18036124
	v_pk_mul_f32 v[178:179], v[36:37], v[178:179]              // 000000006A50: D3B140B2 18036524
	v_pk_mul_f32 v[180:181], v[36:37], v[180:181]              // 000000006A58: D3B140B4 18036924
	v_pk_mul_f32 v[182:183], v[36:37], v[182:183]              // 000000006A60: D3B140B6 18036D24
	v_pk_mul_f32 v[184:185], v[36:37], v[184:185]              // 000000006A68: D3B140B8 18037124
	v_pk_mul_f32 v[186:187], v[36:37], v[186:187]              // 000000006A70: D3B140BA 18037524
	v_pk_mul_f32 v[188:189], v[36:37], v[188:189]              // 000000006A78: D3B140BC 18037924
	v_pk_mul_f32 v[190:191], v[36:37], v[190:191]              // 000000006A80: D3B140BE 18037D24
	v_pk_mul_f32 v[192:193], v[36:37], v[192:193]              // 000000006A88: D3B140C0 18038124
	v_pk_mul_f32 v[194:195], v[36:37], v[194:195]              // 000000006A90: D3B140C2 18038524
	v_pk_mul_f32 v[196:197], v[36:37], v[196:197]              // 000000006A98: D3B140C4 18038924
	v_pk_mul_f32 v[198:199], v[36:37], v[198:199]              // 000000006AA0: D3B140C6 18038D24
	v_pk_mul_f32 v[200:201], v[36:37], v[200:201]              // 000000006AA8: D3B140C8 18039124
	v_pk_mul_f32 v[202:203], v[36:37], v[202:203]              // 000000006AB0: D3B140CA 18039524
	v_mfma_f32_32x32x64_f8f6f4 v[44:59], a[136:143], a[64:71], v[44:59]// 000000006AB8: D3AE002C 1CB28188
	ds_read_b64_tr_b8 a[120:121], v5 offset:3072               // 000000006AC0: DBC40C00 78000005
	ds_read_b64_tr_b8 a[122:123], v6 offset:3072               // 000000006AC8: DBC40C00 7A000006
	ds_read_b64_tr_b8 a[124:125], v5 offset:21504              // 000000006AD0: DBC45400 7C000005
	ds_read_b64_tr_b8 a[126:127], v6 offset:21504              // 000000006AD8: DBC45400 7E000006
	ds_read_b64_tr_b8 a[128:129], v7 offset:3072               // 000000006AE0: DBC40C00 80000007
	ds_read_b64_tr_b8 a[130:131], v8 offset:3072               // 000000006AE8: DBC40C00 82000008
	ds_read_b64_tr_b8 a[132:133], v7 offset:21504              // 000000006AF0: DBC45400 84000007
	ds_read_b64_tr_b8 a[134:135], v8 offset:21504              // 000000006AF8: DBC45400 86000008
	buffer_load_dwordx4 v217, s[20:23], 0 offen offset:512 lds // 000000006B00: E05D1200 800500D9
	s_add_i32 m0, m0, 0x3c0                                    // 000000006B08: 817CFF7C 000003C0
	s_addk_i32 s70, 0x1                                        // 000000006B10: B7460001
	s_cmp_lt_i32 s70, s71                                      // 000000006B14: BF044746
	s_cbranch_scc0 label_3174                                  // 000000006B18: BF84FA96
	v_mul_u32_u24_e64 v217, v33, s68                           // 000000006B1C: D10800D9 00008921
	v_add_u32_e32 v217, v217, v1                               // 000000006B24: 69B203D9
	s_waitcnt vmcnt(10)                                        // 000000006B28: BF8C0F7A
	s_barrier                                                  // 000000006B2C: BF8A0000
	s_waitcnt lgkmcnt(8)                                       // 000000006B30: BF8CC87F
	v_mfma_f32_32x32x64_f8f6f4 v[76:91], a[72:79], v[60:67], v[76:91]// 000000006B34: D3AE004C 0D327948
	v_mov_b32_e32 v213, v44                                    // 000000006B3C: 7FAA032C
	v_max3_f32 v213, v44, v45, v213                            // 000000006B40: D1D300D5 07565B2C
	v_max3_f32 v213, v46, v47, v213                            // 000000006B48: D1D300D5 07565F2E
	v_max3_f32 v213, v48, v49, v213                            // 000000006B50: D1D300D5 07566330
	v_max3_f32 v213, v50, v51, v213                            // 000000006B58: D1D300D5 07566732
	v_max3_f32 v213, v52, v53, v213                            // 000000006B60: D1D300D5 07566B34
	v_max3_f32 v213, v54, v55, v213                            // 000000006B68: D1D300D5 07566F36
	v_max3_f32 v213, v56, v57, v213                            // 000000006B70: D1D300D5 07567338
	v_max3_f32 v213, v58, v59, v213                            // 000000006B78: D1D300D5 0756773A
	v_mov_b32_e32 v35, v213                                    // 000000006B80: 7E4603D5
	v_mov_b32_e32 v36, v213                                    // 000000006B84: 7E4803D5
	s_nop 0                                                    // 000000006B88: BF800000
	ds_read_b128 a[72:75], v26                                 // 000000006B8C: DBFE0000 4800001A
	ds_read_b128 a[76:79], v27                                 // 000000006B94: DBFE0000 4C00001B
	v_mfma_f32_32x32x64_f8f6f4 v[92:107], a[80:87], v[60:67], v[92:107]// 000000006B9C: D3AE005C 0D727950
	v_permlane32_swap_b32_e32 v35, v36                         // 000000006BA4: 7E46B524
	v_max3_f32 v213, v35, v36, v213                            // 000000006BA8: D1D300D5 07564923
	ds_write_b32 v41, v213                                     // 000000006BB0: D81A0000 0000D529
	s_mov_b32 s56, 0x2000                                      // 000000006BB8: BEB800FF 00002000
	s_mul_i32 s57, s7, 0x2400                                  // 000000006BC0: 9239FF07 00002400
	s_add_u32 m0, s56, s57                                     // 000000006BC8: 807C3938
	buffer_load_dwordx4 v217, s[20:23], 0 offen lds            // 000000006BCC: E05D1000 800500D9
	s_add_i32 m0, m0, 0x3c0                                    // 000000006BD4: 817CFF7C 000003C0
	buffer_load_dwordx4 v217, s[20:23], 0 offen offset:64 lds  // 000000006BDC: E05D1040 800500D9
	s_add_i32 m0, m0, 0x3c0                                    // 000000006BE4: 817CFF7C 000003C0
	s_waitcnt lgkmcnt(0)                                       // 000000006BEC: BF8CC07F
	s_barrier                                                  // 000000006BF0: BF8A0000
	v_mfma_f32_32x32x64_f8f6f4 v[108:123], a[88:95], v[60:67], v[108:123]// 000000006BF4: D3AE006C 0DB27958
	ds_read_b32 v35, v40                                       // 000000006BFC: D86C0000 23000028
	ds_read_b32 v36, v40 offset:256                            // 000000006C04: D86C0100 24000028
	s_waitcnt lgkmcnt(0)                                       // 000000006C0C: BF8CC07F
	v_max3_f32 v213, v35, v36, v213                            // 000000006C10: D1D300D5 07564923
	v_mov_b32_e32 v35, 0xff800000                              // 000000006C18: 7E4602FF FF800000
	v_cmp_eq_u32_e64 s[36:37], v35, v2                         // 000000006C20: D0CA0024 00020523
	v_max_f32_e32 v216, v213, v2                               // 000000006C28: 17B005D5
	v_sub_f32_e32 v21, v2, v216                                // 000000006C2C: 042BB102
	v_cndmask_b32_e64 v21, v21, 0, s[36:37]                    // 000000006C30: D1000015 00910115
	v_mfma_f32_32x32x64_f8f6f4 v[124:139], a[96:103], v[60:67], v[124:139]// 000000006C38: D3AE007C 0DF27960
	ds_read_b128 a[80:83], v26 offset:1024                     // 000000006C40: DBFE0400 5000001A
	ds_read_b128 a[84:87], v27 offset:1024                     // 000000006C48: DBFE0400 5400001B
	ds_read_b128 a[88:91], v26 offset:2048                     // 000000006C50: DBFE0800 5800001A
	ds_read_b128 a[92:95], v27 offset:2048                     // 000000006C58: DBFE0800 5C00001B
	ds_read_b128 a[96:99], v26 offset:3072                     // 000000006C60: DBFE0C00 6000001A
	ds_read_b128 a[100:103], v27 offset:3072                   // 000000006C68: DBFE0C00 6400001B
	v_mov_b32_e32 v2, v216                                     // 000000006C70: 7E0403D8
	v_mul_f32_e32 v212, s5, v216                               // 000000006C74: 0BA9B005
	v_mul_f32_e32 v21, s5, v21                                 // 000000006C78: 0A2A2A05
	v_exp_f32_e32 v21, v21                                     // 000000006C7C: 7E2A4115
	v_fma_f32 v44, v44, s5, -v212                              // 000000006C80: D1CB002C 87500B2C
	v_fma_f32 v45, v45, s5, -v212                              // 000000006C88: D1CB002D 87500B2D
	v_fma_f32 v46, v46, s5, -v212                              // 000000006C90: D1CB002E 87500B2E
	v_fma_f32 v47, v47, s5, -v212                              // 000000006C98: D1CB002F 87500B2F
	v_fma_f32 v48, v48, s5, -v212                              // 000000006CA0: D1CB0030 87500B30
	v_mfma_f32_32x32x64_f8f6f4 v[140:155], a[104:111], v[60:67], v[140:155]// 000000006CA8: D3AE008C 0E327968
	buffer_load_dwordx4 v217, s[20:23], 0 offen offset:128 lds // 000000006CB0: E05D1080 800500D9
	s_add_i32 m0, m0, 0x3c0                                    // 000000006CB8: 817CFF7C 000003C0
	v_fma_f32 v49, v49, s5, -v212                              // 000000006CC0: D1CB0031 87500B31
	v_fma_f32 v50, v50, s5, -v212                              // 000000006CC8: D1CB0032 87500B32
	v_fma_f32 v51, v51, s5, -v212                              // 000000006CD0: D1CB0033 87500B33
	v_fma_f32 v52, v52, s5, -v212                              // 000000006CD8: D1CB0034 87500B34
	v_fma_f32 v53, v53, s5, -v212                              // 000000006CE0: D1CB0035 87500B35
	v_fma_f32 v54, v54, s5, -v212                              // 000000006CE8: D1CB0036 87500B36
	v_fma_f32 v55, v55, s5, -v212                              // 000000006CF0: D1CB0037 87500B37
	v_fma_f32 v56, v56, s5, -v212                              // 000000006CF8: D1CB0038 87500B38
	v_fma_f32 v57, v57, s5, -v212                              // 000000006D00: D1CB0039 87500B39
	v_fma_f32 v58, v58, s5, -v212                              // 000000006D08: D1CB003A 87500B3A
	v_fma_f32 v59, v59, s5, -v212                              // 000000006D10: D1CB003B 87500B3B
	v_exp_f32_e32 v44, v44                                     // 000000006D18: 7E58412C
	v_exp_f32_e32 v45, v45                                     // 000000006D1C: 7E5A412D
	v_mfma_f32_32x32x64_f8f6f4 v[156:171], a[112:119], v[60:67], v[156:171]// 000000006D20: D3AE009C 0E727970
	ds_read_b128 a[104:107], v26 offset:4096                   // 000000006D28: DBFE1000 6800001A
	ds_read_b128 a[108:111], v27 offset:4096                   // 000000006D30: DBFE1000 6C00001B
	ds_read_b128 a[112:115], v26 offset:5120                   // 000000006D38: DBFE1400 7000001A
	ds_read_b128 a[116:119], v27 offset:5120                   // 000000006D40: DBFE1400 7400001B
	ds_read_b128 a[120:123], v26 offset:6144                   // 000000006D48: DBFE1800 7800001A
	ds_read_b128 a[124:127], v27 offset:6144                   // 000000006D50: DBFE1800 7C00001B
	v_exp_f32_e32 v46, v46                                     // 000000006D58: 7E5C412E
	v_exp_f32_e32 v47, v47                                     // 000000006D5C: 7E5E412F
	v_exp_f32_e32 v48, v48                                     // 000000006D60: 7E604130
	v_exp_f32_e32 v49, v49                                     // 000000006D64: 7E624131
	v_exp_f32_e32 v50, v50                                     // 000000006D68: 7E644132
	v_mfma_f32_32x32x64_f8f6f4 v[172:187], a[120:127], v[60:67], v[172:187]// 000000006D6C: D3AE00AC 0EB27978
	buffer_load_dwordx4 v217, s[20:23], 0 offen offset:192 lds // 000000006D74: E05D10C0 800500D9
	s_add_i32 m0, m0, 0x3c0                                    // 000000006D7C: 817CFF7C 000003C0
	v_exp_f32_e32 v51, v51                                     // 000000006D84: 7E664133
	v_exp_f32_e32 v52, v52                                     // 000000006D88: 7E684134
	v_exp_f32_e32 v53, v53                                     // 000000006D8C: 7E6A4135
	v_exp_f32_e32 v54, v54                                     // 000000006D90: 7E6C4136
	v_exp_f32_e32 v55, v55                                     // 000000006D94: 7E6E4137
	v_exp_f32_e32 v56, v56                                     // 000000006D98: 7E704138
	v_exp_f32_e32 v57, v57                                     // 000000006D9C: 7E724139
	v_mfma_f32_32x32x64_f8f6f4 v[188:203], a[128:135], v[60:67], v[188:203]// 000000006DA0: D3AE00BC 0EF27980
	v_exp_f32_e32 v58, v58                                     // 000000006DA8: 7E74413A
	v_exp_f32_e32 v59, v59                                     // 000000006DAC: 7E76413B
	v_mul_f32_e32 v4, v21, v4                                  // 000000006DB0: 0A080915
	v_mov_b32_e32 v35, v44                                     // 000000006DB4: 7E46032C
	v_add_f32_e32 v35, v45, v35                                // 000000006DB8: 0246472D
	v_add_f32_e32 v35, v46, v35                                // 000000006DBC: 0246472E
	v_add_f32_e32 v35, v47, v35                                // 000000006DC0: 0246472F
	v_add_f32_e32 v35, v48, v35                                // 000000006DC4: 02464730
	ds_read_b128 a[128:131], v26 offset:7168                   // 000000006DC8: DBFE1C00 8000001A
	ds_read_b128 a[132:135], v27 offset:7168                   // 000000006DD0: DBFE1C00 8400001B
	ds_read_b128 a[136:139], v26 offset:8192                   // 000000006DD8: DBFE2000 8800001A
	ds_read_b128 a[140:143], v27 offset:8192                   // 000000006DE0: DBFE2000 8C00001B
	v_add_f32_e32 v35, v49, v35                                // 000000006DE8: 02464731
	v_add_f32_e32 v35, v50, v35                                // 000000006DEC: 02464732
	v_add_f32_e32 v35, v51, v35                                // 000000006DF0: 02464733
	v_add_f32_e32 v35, v52, v35                                // 000000006DF4: 02464734
	v_add_f32_e32 v35, v53, v35                                // 000000006DF8: 02464735
	v_add_f32_e32 v35, v54, v35                                // 000000006DFC: 02464736
	v_add_f32_e32 v35, v55, v35                                // 000000006E00: 02464737
	v_add_f32_e32 v35, v56, v35                                // 000000006E04: 02464738
	v_add_f32_e32 v35, v57, v35                                // 000000006E08: 02464739
	v_add_f32_e32 v35, v58, v35                                // 000000006E0C: 0246473A
	v_add_f32_e32 v35, v59, v35                                // 000000006E10: 0246473B
	v_add_f32_e32 v4, v35, v4                                  // 000000006E14: 02080923
	v_cvt_pk_fp8_f32 v44, v44, v45                             // 000000006E18: D2A2002C 00025B2C
	v_cvt_pk_fp8_f32 v44, v46, v47 op_sel:[0,0,1]              // 000000006E20: D2A2402C 00025F2E
	v_cvt_pk_fp8_f32 v45, v48, v49                             // 000000006E28: D2A2002D 00026330
	v_cvt_pk_fp8_f32 v45, v50, v51 op_sel:[0,0,1]              // 000000006E30: D2A2402D 00026732
	v_cvt_pk_fp8_f32 v46, v52, v53                             // 000000006E38: D2A2002E 00026B34
	v_cvt_pk_fp8_f32 v46, v54, v55 op_sel:[0,0,1]              // 000000006E40: D2A2402E 00026F36
	v_cvt_pk_fp8_f32 v47, v56, v57                             // 000000006E48: D2A2002F 00027338
	v_cvt_pk_fp8_f32 v47, v58, v59 op_sel:[0,0,1]              // 000000006E50: D2A2402F 0002773A
	s_waitcnt lgkmcnt(8)                                       // 000000006E58: BF8CC87F
	v_mfma_f32_32x32x64_f8f6f4 v[60:75], a[72:79], a[0:7], 0   // 000000006E5C: D3AE003C 1A020148
	ds_write_b128 v43, v[44:47] offset:1024                    // 000000006E64: D9BE0400 00002C2B
	v_mul_f32_e32 v76, v21, v76                                // 000000006E6C: 0A989915
	v_mul_f32_e32 v77, v21, v77                                // 000000006E70: 0A9A9B15
	v_mul_f32_e32 v78, v21, v78                                // 000000006E74: 0A9C9D15
	v_mul_f32_e32 v79, v21, v79                                // 000000006E78: 0A9E9F15
	v_mul_f32_e32 v80, v21, v80                                // 000000006E7C: 0AA0A115
	v_mul_f32_e32 v81, v21, v81                                // 000000006E80: 0AA2A315
	v_mul_f32_e32 v82, v21, v82                                // 000000006E84: 0AA4A515
	v_mul_f32_e32 v83, v21, v83                                // 000000006E88: 0AA6A715
	v_mul_f32_e32 v84, v21, v84                                // 000000006E8C: 0AA8A915
	v_mul_f32_e32 v85, v21, v85                                // 000000006E90: 0AAAAB15
	v_mul_f32_e32 v86, v21, v86                                // 000000006E94: 0AACAD15
	v_mul_f32_e32 v87, v21, v87                                // 000000006E98: 0AAEAF15
	v_mul_f32_e32 v88, v21, v88                                // 000000006E9C: 0AB0B115
	v_mul_f32_e32 v89, v21, v89                                // 000000006EA0: 0AB2B315
	v_mfma_f32_32x32x64_f8f6f4 v[60:75], a[80:87], a[8:15], v[60:75]// 000000006EA4: D3AE003C 1CF21150
	buffer_load_dword v31, v34, s[24:27], 0 offen              // 000000006EAC: E0501000 80061F22
	buffer_load_dwordx4 v217, s[20:23], 0 offen offset:256 lds // 000000006EB4: E05D1100 800500D9
	s_add_i32 m0, m0, 0x3c0                                    // 000000006EBC: 817CFF7C 000003C0
	v_mul_f32_e32 v90, v21, v90                                // 000000006EC4: 0AB4B515
	v_mul_f32_e32 v91, v21, v91                                // 000000006EC8: 0AB6B715
	v_mul_f32_e32 v92, v21, v92                                // 000000006ECC: 0AB8B915
	v_mul_f32_e32 v93, v21, v93                                // 000000006ED0: 0ABABB15
	v_mul_f32_e32 v94, v21, v94                                // 000000006ED4: 0ABCBD15
	v_mul_f32_e32 v95, v21, v95                                // 000000006ED8: 0ABEBF15
	v_mov_b32_e32 v36, v21                                     // 000000006EDC: 7E480315
	v_mov_b32_e32 v37, v21                                     // 000000006EE0: 7E4A0315
	v_pk_mul_f32 v[140:141], v[36:37], v[140:141]              // 000000006EE4: D3B1408C 18031924
	v_pk_mul_f32 v[142:143], v[36:37], v[142:143]              // 000000006EEC: D3B1408E 18031D24
	s_waitcnt lgkmcnt(0)                                       // 000000006EF4: BF8CC07F
	s_barrier                                                  // 000000006EF8: BF8A0000
	v_mfma_f32_32x32x64_f8f6f4 v[60:75], a[88:95], a[16:23], v[60:75]// 000000006EFC: D3AE003C 1CF22158
	ds_read_b128 v[44:47], v42 offset:1024                     // 000000006F04: D9FE0400 2C00002A
	ds_read_b128 v[48:51], v42 offset:2048                     // 000000006F0C: D9FE0800 3000002A
	ds_read_b64_tr_b8 a[72:73], v9                             // 000000006F14: DBC40000 48000009
	ds_read_b64_tr_b8 a[74:75], v10                            // 000000006F1C: DBC40000 4A00000A
	ds_read_b64_tr_b8 a[76:77], v9 offset:18432                // 000000006F24: DBC44800 4C000009
	ds_read_b64_tr_b8 a[78:79], v10 offset:18432               // 000000006F2C: DBC44800 4E00000A
	ds_read_b64_tr_b8 a[80:81], v11                            // 000000006F34: DBC40000 5000000B
	ds_read_b64_tr_b8 a[82:83], v12                            // 000000006F3C: DBC40000 5200000C
	ds_read_b64_tr_b8 a[84:85], v11 offset:18432               // 000000006F44: DBC44800 5400000B
	ds_read_b64_tr_b8 a[86:87], v12 offset:18432               // 000000006F4C: DBC44800 5600000C
	v_mul_f32_e32 v96, v21, v96                                // 000000006F54: 0AC0C115
	v_mul_f32_e32 v97, v21, v97                                // 000000006F58: 0AC2C315
	v_mul_f32_e32 v98, v21, v98                                // 000000006F5C: 0AC4C515
	v_mul_f32_e32 v99, v21, v99                                // 000000006F60: 0AC6C715
	v_mul_f32_e32 v100, v21, v100                              // 000000006F64: 0AC8C915
	v_mul_f32_e32 v101, v21, v101                              // 000000006F68: 0ACACB15
	v_mul_f32_e32 v102, v21, v102                              // 000000006F6C: 0ACCCD15
	v_mul_f32_e32 v103, v21, v103                              // 000000006F70: 0ACECF15
	v_mul_f32_e32 v104, v21, v104                              // 000000006F74: 0AD0D115
	v_mul_f32_e32 v105, v21, v105                              // 000000006F78: 0AD2D315
	v_mul_f32_e32 v106, v21, v106                              // 000000006F7C: 0AD4D515
	v_mul_f32_e32 v107, v21, v107                              // 000000006F80: 0AD6D715
	v_add_u32_e32 v34, s73, v34                                // 000000006F84: 68444449
	v_mfma_f32_32x32x64_f8f6f4 v[60:75], a[96:103], a[24:31], v[60:75]// 000000006F88: D3AE003C 1CF23160
	buffer_load_dwordx4 v217, s[20:23], 0 offen offset:320 lds // 000000006F90: E05D1140 800500D9
	s_add_i32 m0, m0, 0x3c0                                    // 000000006F98: 817CFF7C 000003C0
	v_mul_f32_e32 v108, v21, v108                              // 000000006FA0: 0AD8D915
	v_mul_f32_e32 v109, v21, v109                              // 000000006FA4: 0ADADB15
	v_mul_f32_e32 v110, v21, v110                              // 000000006FA8: 0ADCDD15
	v_mul_f32_e32 v111, v21, v111                              // 000000006FAC: 0ADEDF15
	v_mul_f32_e32 v112, v21, v112                              // 000000006FB0: 0AE0E115
	v_mul_f32_e32 v113, v21, v113                              // 000000006FB4: 0AE2E315
	v_mul_f32_e32 v114, v21, v114                              // 000000006FB8: 0AE4E515
	v_mul_f32_e32 v115, v21, v115                              // 000000006FBC: 0AE6E715
	v_mul_f32_e32 v116, v21, v116                              // 000000006FC0: 0AE8E915
	v_mul_f32_e32 v117, v21, v117                              // 000000006FC4: 0AEAEB15
	v_mul_f32_e32 v118, v21, v118                              // 000000006FC8: 0AECED15
	v_mul_f32_e32 v119, v21, v119                              // 000000006FCC: 0AEEEF15
	v_mfma_f32_32x32x64_f8f6f4 v[60:75], a[104:111], a[32:39], v[60:75]// 000000006FD0: D3AE003C 1CF24168
	ds_read_b64_tr_b8 a[88:89], v9 offset:1024                 // 000000006FD8: DBC40400 58000009
	ds_read_b64_tr_b8 a[90:91], v10 offset:1024                // 000000006FE0: DBC40400 5A00000A
	ds_read_b64_tr_b8 a[92:93], v9 offset:19456                // 000000006FE8: DBC44C00 5C000009
	ds_read_b64_tr_b8 a[94:95], v10 offset:19456               // 000000006FF0: DBC44C00 5E00000A
	ds_read_b64_tr_b8 a[96:97], v11 offset:1024                // 000000006FF8: DBC40400 6000000B
	ds_read_b64_tr_b8 a[98:99], v12 offset:1024                // 000000007000: DBC40400 6200000C
	ds_read_b64_tr_b8 a[100:101], v11 offset:19456             // 000000007008: DBC44C00 6400000B
	ds_read_b64_tr_b8 a[102:103], v12 offset:19456             // 000000007010: DBC44C00 6600000C
	v_mul_f32_e32 v120, v21, v120                              // 000000007018: 0AF0F115
	v_mul_f32_e32 v121, v21, v121                              // 00000000701C: 0AF2F315
	v_mul_f32_e32 v122, v21, v122                              // 000000007020: 0AF4F515
	v_mul_f32_e32 v123, v21, v123                              // 000000007024: 0AF6F715
	v_mul_f32_e32 v124, v21, v124                              // 000000007028: 0AF8F915
	v_mul_f32_e32 v125, v21, v125                              // 00000000702C: 0AFAFB15
	v_mul_f32_e32 v126, v21, v126                              // 000000007030: 0AFCFD15
	v_mul_f32_e32 v127, v21, v127                              // 000000007034: 0AFEFF15
	v_mul_f32_e32 v128, v21, v128                              // 000000007038: 0B010115
	v_mul_f32_e32 v129, v21, v129                              // 00000000703C: 0B030315
	v_mul_f32_e32 v130, v21, v130                              // 000000007040: 0B050515
	v_mul_f32_e32 v131, v21, v131                              // 000000007044: 0B070715
	v_mfma_f32_32x32x64_f8f6f4 v[60:75], a[112:119], a[40:47], v[60:75]// 000000007048: D3AE003C 1CF25170
	s_waitcnt lgkmcnt(0)                                       // 000000007050: BF8CC07F
	buffer_load_dwordx4 v217, s[20:23], 0 offen offset:384 lds // 000000007054: E05D1180 800500D9
	s_add_i32 m0, m0, 0x3c0                                    // 00000000705C: 817CFF7C 000003C0
	v_mul_f32_e32 v132, v21, v132                              // 000000007064: 0B090915
	v_mul_f32_e32 v133, v21, v133                              // 000000007068: 0B0B0B15
	v_mul_f32_e32 v134, v21, v134                              // 00000000706C: 0B0D0D15
	v_mul_f32_e32 v135, v21, v135                              // 000000007070: 0B0F0F15
	v_mul_f32_e32 v136, v21, v136                              // 000000007074: 0B111115
	v_mul_f32_e32 v137, v21, v137                              // 000000007078: 0B131315
	v_mul_f32_e32 v138, v21, v138                              // 00000000707C: 0B151515
	v_mul_f32_e32 v139, v21, v139                              // 000000007080: 0B171715
	v_mfma_f32_32x32x64_f8f6f4 v[60:75], a[120:127], a[48:55], v[60:75]// 000000007084: D3AE003C 1CF26178
	ds_read_b64_tr_b8 a[104:105], v9 offset:2048               // 00000000708C: DBC40800 68000009
	ds_read_b64_tr_b8 a[106:107], v10 offset:2048              // 000000007094: DBC40800 6A00000A
	ds_read_b64_tr_b8 a[108:109], v9 offset:20480              // 00000000709C: DBC45000 6C000009
	ds_read_b64_tr_b8 a[110:111], v10 offset:20480             // 0000000070A4: DBC45000 6E00000A
	ds_read_b64_tr_b8 a[112:113], v11 offset:2048              // 0000000070AC: DBC40800 7000000B
	ds_read_b64_tr_b8 a[114:115], v12 offset:2048              // 0000000070B4: DBC40800 7200000C
	ds_read_b64_tr_b8 a[116:117], v11 offset:20480             // 0000000070BC: DBC45000 7400000B
	ds_read_b64_tr_b8 a[118:119], v12 offset:20480             // 0000000070C4: DBC45000 7600000C
	v_permlane32_swap_b32_e32 v44, v46                         // 0000000070CC: 7E58B52E
	v_permlane32_swap_b32_e32 v45, v47                         // 0000000070D0: 7E5AB52F
	v_swap_b32 v45, v46                                        // 0000000070D4: 7E5AA32E
	v_permlane32_swap_b32_e32 v48, v50                         // 0000000070D8: 7E60B532
	v_permlane32_swap_b32_e32 v49, v51                         // 0000000070DC: 7E62B533
	v_swap_b32 v49, v50                                        // 0000000070E0: 7E62A332
	v_mfma_f32_32x32x64_f8f6f4 v[60:75], a[128:135], a[56:63], v[60:75]// 0000000070E4: D3AE003C 1CF27180
	buffer_load_dwordx4 v217, s[20:23], 0 offen offset:448 lds // 0000000070EC: E05D11C0 800500D9
	s_add_i32 m0, m0, 0x3c0                                    // 0000000070F4: 817CFF7C 000003C0
	v_pk_mul_f32 v[144:145], v[36:37], v[144:145]              // 0000000070FC: D3B14090 18032124
	v_pk_mul_f32 v[146:147], v[36:37], v[146:147]              // 000000007104: D3B14092 18032524
	v_pk_mul_f32 v[148:149], v[36:37], v[148:149]              // 00000000710C: D3B14094 18032924
	v_pk_mul_f32 v[150:151], v[36:37], v[150:151]              // 000000007114: D3B14096 18032D24
	v_pk_mul_f32 v[152:153], v[36:37], v[152:153]              // 00000000711C: D3B14098 18033124
	v_pk_mul_f32 v[154:155], v[36:37], v[154:155]              // 000000007124: D3B1409A 18033524
	v_pk_mul_f32 v[156:157], v[36:37], v[156:157]              // 00000000712C: D3B1409C 18033924
	v_pk_mul_f32 v[158:159], v[36:37], v[158:159]              // 000000007134: D3B1409E 18033D24
	v_pk_mul_f32 v[160:161], v[36:37], v[160:161]              // 00000000713C: D3B140A0 18034124
	v_pk_mul_f32 v[162:163], v[36:37], v[162:163]              // 000000007144: D3B140A2 18034524
	v_pk_mul_f32 v[164:165], v[36:37], v[164:165]              // 00000000714C: D3B140A4 18034924
	v_pk_mul_f32 v[166:167], v[36:37], v[166:167]              // 000000007154: D3B140A6 18034D24
	v_pk_mul_f32 v[168:169], v[36:37], v[168:169]              // 00000000715C: D3B140A8 18035124
	v_pk_mul_f32 v[170:171], v[36:37], v[170:171]              // 000000007164: D3B140AA 18035524
	v_pk_mul_f32 v[172:173], v[36:37], v[172:173]              // 00000000716C: D3B140AC 18035924
	v_pk_mul_f32 v[174:175], v[36:37], v[174:175]              // 000000007174: D3B140AE 18035D24
	v_pk_mul_f32 v[176:177], v[36:37], v[176:177]              // 00000000717C: D3B140B0 18036124
	v_pk_mul_f32 v[178:179], v[36:37], v[178:179]              // 000000007184: D3B140B2 18036524
	v_pk_mul_f32 v[180:181], v[36:37], v[180:181]              // 00000000718C: D3B140B4 18036924
	v_pk_mul_f32 v[182:183], v[36:37], v[182:183]              // 000000007194: D3B140B6 18036D24
	v_pk_mul_f32 v[184:185], v[36:37], v[184:185]              // 00000000719C: D3B140B8 18037124
	v_pk_mul_f32 v[186:187], v[36:37], v[186:187]              // 0000000071A4: D3B140BA 18037524
	v_pk_mul_f32 v[188:189], v[36:37], v[188:189]              // 0000000071AC: D3B140BC 18037924
	v_pk_mul_f32 v[190:191], v[36:37], v[190:191]              // 0000000071B4: D3B140BE 18037D24
	v_pk_mul_f32 v[192:193], v[36:37], v[192:193]              // 0000000071BC: D3B140C0 18038124
	v_pk_mul_f32 v[194:195], v[36:37], v[194:195]              // 0000000071C4: D3B140C2 18038524
	v_pk_mul_f32 v[196:197], v[36:37], v[196:197]              // 0000000071CC: D3B140C4 18038924
	v_pk_mul_f32 v[198:199], v[36:37], v[198:199]              // 0000000071D4: D3B140C6 18038D24
	v_pk_mul_f32 v[200:201], v[36:37], v[200:201]              // 0000000071DC: D3B140C8 18039124
	v_pk_mul_f32 v[202:203], v[36:37], v[202:203]              // 0000000071E4: D3B140CA 18039524
	v_mfma_f32_32x32x64_f8f6f4 v[60:75], a[136:143], a[64:71], v[60:75]// 0000000071EC: D3AE003C 1CF28188
	ds_read_b64_tr_b8 a[120:121], v9 offset:3072               // 0000000071F4: DBC40C00 78000009
	ds_read_b64_tr_b8 a[122:123], v10 offset:3072              // 0000000071FC: DBC40C00 7A00000A
	ds_read_b64_tr_b8 a[124:125], v9 offset:21504              // 000000007204: DBC45400 7C000009
	ds_read_b64_tr_b8 a[126:127], v10 offset:21504             // 00000000720C: DBC45400 7E00000A
	ds_read_b64_tr_b8 a[128:129], v11 offset:3072              // 000000007214: DBC40C00 8000000B
	ds_read_b64_tr_b8 a[130:131], v12 offset:3072              // 00000000721C: DBC40C00 8200000C
	ds_read_b64_tr_b8 a[132:133], v11 offset:21504             // 000000007224: DBC45400 8400000B
	ds_read_b64_tr_b8 a[134:135], v12 offset:21504             // 00000000722C: DBC45400 8600000C
	buffer_load_dwordx4 v217, s[20:23], 0 offen offset:512 lds // 000000007234: E05D1200 800500D9
	s_add_i32 m0, m0, 0x3c0                                    // 00000000723C: 817CFF7C 000003C0
	s_addk_i32 s70, 0x1                                        // 000000007244: B7460001
	s_cmp_lt_i32 s70, s71                                      // 000000007248: BF044746
	s_cbranch_scc0 label_3174                                  // 00000000724C: BF84F8C9
	s_branch label_3180                                        // 000000007250: BF82F8CB

0000000000007254 <label_4E54>:
	ds_read_b64_tr_b8 a[72:73], v9                             // 000000007254: DBC40000 48000009
	ds_read_b64_tr_b8 a[74:75], v10                            // 00000000725C: DBC40000 4A00000A
	ds_read_b64_tr_b8 a[76:77], v9 offset:18432                // 000000007264: DBC44800 4C000009
	ds_read_b64_tr_b8 a[78:79], v10 offset:18432               // 00000000726C: DBC44800 4E00000A
	ds_read_b64_tr_b8 a[80:81], v11                            // 000000007274: DBC40000 5000000B
	ds_read_b64_tr_b8 a[82:83], v12                            // 00000000727C: DBC40000 5200000C
	ds_read_b64_tr_b8 a[84:85], v11 offset:18432               // 000000007284: DBC44800 5400000B
	ds_read_b64_tr_b8 a[86:87], v12 offset:18432               // 00000000728C: DBC44800 5600000C
	ds_read_b64_tr_b8 a[88:89], v9 offset:1024                 // 000000007294: DBC40400 58000009
	ds_read_b64_tr_b8 a[90:91], v10 offset:1024                // 00000000729C: DBC40400 5A00000A
	ds_read_b64_tr_b8 a[92:93], v9 offset:19456                // 0000000072A4: DBC44C00 5C000009
	ds_read_b64_tr_b8 a[94:95], v10 offset:19456               // 0000000072AC: DBC44C00 5E00000A
	ds_read_b64_tr_b8 a[96:97], v11 offset:1024                // 0000000072B4: DBC40400 6000000B
	ds_read_b64_tr_b8 a[98:99], v12 offset:1024                // 0000000072BC: DBC40400 6200000C
	ds_read_b64_tr_b8 a[100:101], v11 offset:19456             // 0000000072C4: DBC44C00 6400000B
	ds_read_b64_tr_b8 a[102:103], v12 offset:19456             // 0000000072CC: DBC44C00 6600000C
	ds_read_b64_tr_b8 a[104:105], v9 offset:2048               // 0000000072D4: DBC40800 68000009
	ds_read_b64_tr_b8 a[106:107], v10 offset:2048              // 0000000072DC: DBC40800 6A00000A
	ds_read_b64_tr_b8 a[108:109], v9 offset:20480              // 0000000072E4: DBC45000 6C000009
	ds_read_b64_tr_b8 a[110:111], v10 offset:20480             // 0000000072EC: DBC45000 6E00000A
	ds_read_b64_tr_b8 a[112:113], v11 offset:2048              // 0000000072F4: DBC40800 7000000B
	ds_read_b64_tr_b8 a[114:115], v12 offset:2048              // 0000000072FC: DBC40800 7200000C
	ds_read_b64_tr_b8 a[116:117], v11 offset:20480             // 000000007304: DBC45000 7400000B
	ds_read_b64_tr_b8 a[118:119], v12 offset:20480             // 00000000730C: DBC45000 7600000C
	ds_read_b64_tr_b8 a[120:121], v9 offset:3072               // 000000007314: DBC40C00 78000009
	ds_read_b64_tr_b8 a[122:123], v10 offset:3072              // 00000000731C: DBC40C00 7A00000A
	ds_read_b64_tr_b8 a[124:125], v9 offset:21504              // 000000007324: DBC45400 7C000009
	ds_read_b64_tr_b8 a[126:127], v10 offset:21504             // 00000000732C: DBC45400 7E00000A
	ds_read_b64_tr_b8 a[128:129], v11 offset:3072              // 000000007334: DBC40C00 8000000B
	ds_read_b64_tr_b8 a[130:131], v12 offset:3072              // 00000000733C: DBC40C00 8200000C
	ds_read_b64_tr_b8 a[132:133], v11 offset:21504             // 000000007344: DBC45400 8400000B
	ds_read_b64_tr_b8 a[134:135], v12 offset:21504             // 00000000734C: DBC45400 8600000C
	s_waitcnt lgkmcnt(4)                                       // 000000007354: BF8CC47F
	v_mfma_f32_32x32x64_f8f6f4 v[76:91], a[72:79], v[44:51], v[76:91]// 000000007358: D3AE004C 0D325948
	ds_read_b128 a[72:75], v26                                 // 000000007360: DBFE0000 4800001A
	ds_read_b128 a[76:79], v27                                 // 000000007368: DBFE0000 4C00001B
	v_mfma_f32_32x32x64_f8f6f4 v[92:107], a[80:87], v[44:51], v[92:107]// 000000007370: D3AE005C 0D725950
	ds_read_b128 a[80:83], v26 offset:1024                     // 000000007378: DBFE0400 5000001A
	ds_read_b128 a[84:87], v27 offset:1024                     // 000000007380: DBFE0400 5400001B
	v_mfma_f32_32x32x64_f8f6f4 v[108:123], a[88:95], v[44:51], v[108:123]// 000000007388: D3AE006C 0DB25958
	ds_read_b128 a[88:91], v26 offset:2048                     // 000000007390: DBFE0800 5800001A
	ds_read_b128 a[92:95], v27 offset:2048                     // 000000007398: DBFE0800 5C00001B
	v_mfma_f32_32x32x64_f8f6f4 v[124:139], a[96:103], v[44:51], v[124:139]// 0000000073A0: D3AE007C 0DF25960
	ds_read_b128 a[96:99], v26 offset:3072                     // 0000000073A8: DBFE0C00 6000001A
	ds_read_b128 a[100:103], v27 offset:3072                   // 0000000073B0: DBFE0C00 6400001B
	v_mfma_f32_32x32x64_f8f6f4 v[140:155], a[104:111], v[44:51], v[140:155]// 0000000073B8: D3AE008C 0E325968
	ds_read_b128 a[104:107], v26 offset:4096                   // 0000000073C0: DBFE1000 6800001A
	ds_read_b128 a[108:111], v27 offset:4096                   // 0000000073C8: DBFE1000 6C00001B
	v_mfma_f32_32x32x64_f8f6f4 v[156:171], a[112:119], v[44:51], v[156:171]// 0000000073D0: D3AE009C 0E725970
	ds_read_b128 a[112:115], v26 offset:5120                   // 0000000073D8: DBFE1400 7000001A
	ds_read_b128 a[116:119], v27 offset:5120                   // 0000000073E0: DBFE1400 7400001B
	v_mfma_f32_32x32x64_f8f6f4 v[172:187], a[120:127], v[44:51], v[172:187]// 0000000073E8: D3AE00AC 0EB25978
	ds_read_b128 a[120:123], v26 offset:6144                   // 0000000073F0: DBFE1800 7800001A
	ds_read_b128 a[124:127], v27 offset:6144                   // 0000000073F8: DBFE1800 7C00001B
	v_mfma_f32_32x32x64_f8f6f4 v[188:203], a[128:135], v[44:51], v[188:203]// 000000007400: D3AE00BC 0EF25980
	ds_read_b128 a[128:131], v26 offset:7168                   // 000000007408: DBFE1C00 8000001A
	ds_read_b128 a[132:135], v27 offset:7168                   // 000000007410: DBFE1C00 8400001B
	ds_read_b128 a[136:139], v26 offset:8192                   // 000000007418: DBFE2000 8800001A
	ds_read_b128 a[140:143], v27 offset:8192                   // 000000007420: DBFE2000 8C00001B
	s_branch label_75F0                                        // 000000007428: BF820971

000000000000742c <label_502C>:
	s_and_b32 s56, 3, s71                                      // 00000000742C: 86384783
	s_cmp_eq_i32 s56, 1                                        // 000000007430: BF008138
	s_cbranch_scc1 label_5050                                  // 000000007434: BF850006
	s_cmp_eq_i32 s56, 2                                        // 000000007438: BF008238
	s_cbranch_scc1 label_59B8                                  // 00000000743C: BF85025E
	s_cmp_eq_i32 s56, 3                                        // 000000007440: BF008338
	s_cbranch_scc1 label_6320                                  // 000000007444: BF8504B6
	s_cmp_eq_i32 s56, 0                                        // 000000007448: BF008038
	s_cbranch_scc1 label_6C88                                  // 00000000744C: BF85070E

0000000000007450 <label_5050>:
	s_mov_b32 s56, 64                                          // 000000007450: BEB800C0
	s_mul_i32 s83, s56, s71                                    // 000000007454: 92534738
	s_cmp_le_i32 s83, s82                                      // 000000007458: BF055253
	s_cbranch_scc1 label_5244                                  // 00000000745C: BF850079
	s_mov_b32 s36, 0xffff0000                                  // 000000007460: BEA400FF FFFF0000
	s_mov_b32 s37, 0xffff0000                                  // 000000007468: BEA500FF FFFF0000
	v_mov_b32_e32 v36, s82                                     // 000000007470: 7E480252
	s_add_i32 s56, s82, 1                                      // 000000007474: 81388152
	v_mov_b32_e32 v37, s56                                     // 000000007478: 7E4A0238
	v_cndmask_b32_e64 v35, v36, v37, s[36:37]                  // 00000000747C: D1000023 00924B24
	s_and_b32 s56, 2, s7                                       // 000000007484: 86380782
	v_add_i32 v35, s56, v35                                    // 000000007488: D29C0023 00024638
	s_sub_u32 s56, s83, 64                                     // 000000007490: 80B8C053
	v_lshrrev_b32_e32 v204, 5, v0                              // 000000007494: 21980085
	v_mul_i32_i24_e32 v204, 4, v204                            // 000000007498: 0D999884
	v_add_u32_e32 v204, s56, v204                              // 00000000749C: 69999838
	s_and_b32 s56, s7, 1                                       // 0000000074A0: 86388107
	s_mov_b32 s57, 32                                          // 0000000074A4: BEB900A0
	s_mul_i32 s56, s57, s56                                    // 0000000074A8: 92383839
	v_add_u32_e32 v204, s56, v204                              // 0000000074AC: 69999838
	v_add_u32_e32 v205, 1, v204                                // 0000000074B0: 699B9881
	v_add_u32_e32 v206, 2, v204                                // 0000000074B4: 699D9882
	v_add_u32_e32 v207, 3, v204                                // 0000000074B8: 699F9883
	v_mov_b32_e32 v37, 0xff800000                              // 0000000074BC: 7E4A02FF FF800000
	v_cmp_le_i32_e64 s[36:37], v204, v35                       // 0000000074C4: D0C30024 000247CC
	s_nop 0                                                    // 0000000074CC: BF800000
	v_cndmask_b32_e64 v44, v37, v44, s[36:37]                  // 0000000074D0: D100002C 00925925
	v_add_u32_e32 v204, 8, v204                                // 0000000074D8: 69999888
	v_cmp_le_i32_e64 s[36:37], v205, v35                       // 0000000074DC: D0C30024 000247CD
	s_nop 0                                                    // 0000000074E4: BF800000
	v_cndmask_b32_e64 v45, v37, v45, s[36:37]                  // 0000000074E8: D100002D 00925B25
	v_add_u32_e32 v205, 8, v205                                // 0000000074F0: 699B9A88
	v_cmp_le_i32_e64 s[36:37], v206, v35                       // 0000000074F4: D0C30024 000247CE
	s_nop 0                                                    // 0000000074FC: BF800000
	v_cndmask_b32_e64 v46, v37, v46, s[36:37]                  // 000000007500: D100002E 00925D25
	v_add_u32_e32 v206, 8, v206                                // 000000007508: 699D9C88
	v_cmp_le_i32_e64 s[36:37], v207, v35                       // 00000000750C: D0C30024 000247CF
	s_nop 0                                                    // 000000007514: BF800000
	v_cndmask_b32_e64 v47, v37, v47, s[36:37]                  // 000000007518: D100002F 00925F25
	v_add_u32_e32 v207, 8, v207                                // 000000007520: 699F9E88
	v_cmp_le_i32_e64 s[36:37], v204, v35                       // 000000007524: D0C30024 000247CC
	s_nop 0                                                    // 00000000752C: BF800000
	v_cndmask_b32_e64 v48, v37, v48, s[36:37]                  // 000000007530: D1000030 00926125
	v_add_u32_e32 v204, 8, v204                                // 000000007538: 69999888
	v_cmp_le_i32_e64 s[36:37], v205, v35                       // 00000000753C: D0C30024 000247CD
	s_nop 0                                                    // 000000007544: BF800000
	v_cndmask_b32_e64 v49, v37, v49, s[36:37]                  // 000000007548: D1000031 00926325
	v_add_u32_e32 v205, 8, v205                                // 000000007550: 699B9A88
	v_cmp_le_i32_e64 s[36:37], v206, v35                       // 000000007554: D0C30024 000247CE
	s_nop 0                                                    // 00000000755C: BF800000
	v_cndmask_b32_e64 v50, v37, v50, s[36:37]                  // 000000007560: D1000032 00926525
	v_add_u32_e32 v206, 8, v206                                // 000000007568: 699D9C88
	v_cmp_le_i32_e64 s[36:37], v207, v35                       // 00000000756C: D0C30024 000247CF
	s_nop 0                                                    // 000000007574: BF800000
	v_cndmask_b32_e64 v51, v37, v51, s[36:37]                  // 000000007578: D1000033 00926725
	v_add_u32_e32 v207, 8, v207                                // 000000007580: 699F9E88
	v_cmp_le_i32_e64 s[36:37], v204, v35                       // 000000007584: D0C30024 000247CC
	s_nop 0                                                    // 00000000758C: BF800000
	v_cndmask_b32_e64 v52, v37, v52, s[36:37]                  // 000000007590: D1000034 00926925
	v_add_u32_e32 v204, 8, v204                                // 000000007598: 69999888
	v_cmp_le_i32_e64 s[36:37], v205, v35                       // 00000000759C: D0C30024 000247CD
	s_nop 0                                                    // 0000000075A4: BF800000
	v_cndmask_b32_e64 v53, v37, v53, s[36:37]                  // 0000000075A8: D1000035 00926B25
	v_add_u32_e32 v205, 8, v205                                // 0000000075B0: 699B9A88
	v_cmp_le_i32_e64 s[36:37], v206, v35                       // 0000000075B4: D0C30024 000247CE
	s_nop 0                                                    // 0000000075BC: BF800000
	v_cndmask_b32_e64 v54, v37, v54, s[36:37]                  // 0000000075C0: D1000036 00926D25
	v_add_u32_e32 v206, 8, v206                                // 0000000075C8: 699D9C88
	v_cmp_le_i32_e64 s[36:37], v207, v35                       // 0000000075CC: D0C30024 000247CF
	s_nop 0                                                    // 0000000075D4: BF800000
	v_cndmask_b32_e64 v55, v37, v55, s[36:37]                  // 0000000075D8: D1000037 00926F25
	v_add_u32_e32 v207, 8, v207                                // 0000000075E0: 699F9E88
	v_cmp_le_i32_e64 s[36:37], v204, v35                       // 0000000075E4: D0C30024 000247CC
	s_nop 0                                                    // 0000000075EC: BF800000
	v_cndmask_b32_e64 v56, v37, v56, s[36:37]                  // 0000000075F0: D1000038 00927125
	v_add_u32_e32 v204, 8, v204                                // 0000000075F8: 69999888
	v_cmp_le_i32_e64 s[36:37], v205, v35                       // 0000000075FC: D0C30024 000247CD
	s_nop 0                                                    // 000000007604: BF800000
	v_cndmask_b32_e64 v57, v37, v57, s[36:37]                  // 000000007608: D1000039 00927325
	v_add_u32_e32 v205, 8, v205                                // 000000007610: 699B9A88
	v_cmp_le_i32_e64 s[36:37], v206, v35                       // 000000007614: D0C30024 000247CE
	s_nop 0                                                    // 00000000761C: BF800000
	v_cndmask_b32_e64 v58, v37, v58, s[36:37]                  // 000000007620: D100003A 00927525
	v_add_u32_e32 v206, 8, v206                                // 000000007628: 699D9C88
	v_cmp_le_i32_e64 s[36:37], v207, v35                       // 00000000762C: D0C30024 000247CF
	s_nop 0                                                    // 000000007634: BF800000
	v_cndmask_b32_e64 v59, v37, v59, s[36:37]                  // 000000007638: D100003B 00927725
	v_add_u32_e32 v207, 8, v207                                // 000000007640: 699F9E88

0000000000007644 <label_5244>:
	s_add_u32 s83, s84, s83                                    // 000000007644: 80535354
	s_nop 2                                                    // 000000007648: BF800002
	v_mov_b32_e32 v213, v44                                    // 00000000764C: 7FAA032C
	v_max3_f32 v213, v44, v45, v213                            // 000000007650: D1D300D5 07565B2C
	v_max3_f32 v213, v46, v47, v213                            // 000000007658: D1D300D5 07565F2E
	v_max3_f32 v213, v48, v49, v213                            // 000000007660: D1D300D5 07566330
	v_max3_f32 v213, v50, v51, v213                            // 000000007668: D1D300D5 07566732
	v_max3_f32 v213, v52, v53, v213                            // 000000007670: D1D300D5 07566B34
	v_max3_f32 v213, v54, v55, v213                            // 000000007678: D1D300D5 07566F36
	v_max3_f32 v213, v56, v57, v213                            // 000000007680: D1D300D5 07567338
	v_max3_f32 v213, v58, v59, v213                            // 000000007688: D1D300D5 0756773A
	v_mov_b32_e32 v35, v213                                    // 000000007690: 7E4603D5
	v_mov_b32_e32 v36, v213                                    // 000000007694: 7E4803D5
	s_nop 1                                                    // 000000007698: BF800001
	v_permlane32_swap_b32_e32 v35, v36                         // 00000000769C: 7E46B524
	v_max3_f32 v213, v35, v36, v213                            // 0000000076A0: D1D300D5 07564923
	ds_write_b32 v41, v213                                     // 0000000076A8: D81A0000 0000D529
	s_waitcnt lgkmcnt(0)                                       // 0000000076B0: BF8CC07F
	s_barrier                                                  // 0000000076B4: BF8A0000
	ds_read_b32 v35, v40                                       // 0000000076B8: D86C0000 23000028
	ds_read_b32 v36, v40 offset:256                            // 0000000076C0: D86C0100 24000028
	s_waitcnt lgkmcnt(0)                                       // 0000000076C8: BF8CC07F
	v_max3_f32 v213, v35, v36, v213                            // 0000000076CC: D1D300D5 07564923
	v_mov_b32_e32 v35, 0xff800000                              // 0000000076D4: 7E4602FF FF800000
	v_cmp_eq_u32_e64 s[36:37], v35, v2                         // 0000000076DC: D0CA0024 00020523
	v_max_f32_e32 v216, v213, v2                               // 0000000076E4: 17B005D5
	v_sub_f32_e32 v21, v2, v216                                // 0000000076E8: 042BB102
	v_cndmask_b32_e64 v21, v21, 0, s[36:37]                    // 0000000076EC: D1000015 00910115
	v_mov_b32_e32 v2, v216                                     // 0000000076F4: 7E0403D8
	v_mul_f32_e32 v212, s5, v216                               // 0000000076F8: 0BA9B005
	v_mul_f32_e32 v21, s5, v21                                 // 0000000076FC: 0A2A2A05
	v_exp_f32_e32 v21, v21                                     // 000000007700: 7E2A4115
	v_fma_f32 v44, v44, s5, -v212                              // 000000007704: D1CB002C 87500B2C
	v_fma_f32 v45, v45, s5, -v212                              // 00000000770C: D1CB002D 87500B2D
	v_fma_f32 v46, v46, s5, -v212                              // 000000007714: D1CB002E 87500B2E
	v_fma_f32 v47, v47, s5, -v212                              // 00000000771C: D1CB002F 87500B2F
	v_fma_f32 v48, v48, s5, -v212                              // 000000007724: D1CB0030 87500B30
	v_fma_f32 v49, v49, s5, -v212                              // 00000000772C: D1CB0031 87500B31
	v_fma_f32 v50, v50, s5, -v212                              // 000000007734: D1CB0032 87500B32
	v_fma_f32 v51, v51, s5, -v212                              // 00000000773C: D1CB0033 87500B33
	v_fma_f32 v52, v52, s5, -v212                              // 000000007744: D1CB0034 87500B34
	v_fma_f32 v53, v53, s5, -v212                              // 00000000774C: D1CB0035 87500B35
	v_fma_f32 v54, v54, s5, -v212                              // 000000007754: D1CB0036 87500B36
	v_fma_f32 v55, v55, s5, -v212                              // 00000000775C: D1CB0037 87500B37
	v_fma_f32 v56, v56, s5, -v212                              // 000000007764: D1CB0038 87500B38
	v_fma_f32 v57, v57, s5, -v212                              // 00000000776C: D1CB0039 87500B39
	v_fma_f32 v58, v58, s5, -v212                              // 000000007774: D1CB003A 87500B3A
	v_fma_f32 v59, v59, s5, -v212                              // 00000000777C: D1CB003B 87500B3B
	v_mov_b32_e32 v35, 0xffc00000                              // 000000007784: 7E4602FF FFC00000
	v_exp_f32_e32 v44, v44                                     // 00000000778C: 7E58412C
	v_exp_f32_e32 v45, v45                                     // 000000007790: 7E5A412D
	v_exp_f32_e32 v46, v46                                     // 000000007794: 7E5C412E
	v_exp_f32_e32 v47, v47                                     // 000000007798: 7E5E412F
	v_exp_f32_e32 v48, v48                                     // 00000000779C: 7E604130
	v_exp_f32_e32 v49, v49                                     // 0000000077A0: 7E624131
	v_exp_f32_e32 v50, v50                                     // 0000000077A4: 7E644132
	v_exp_f32_e32 v51, v51                                     // 0000000077A8: 7E664133
	v_exp_f32_e32 v52, v52                                     // 0000000077AC: 7E684134
	v_exp_f32_e32 v53, v53                                     // 0000000077B0: 7E6A4135
	v_exp_f32_e32 v54, v54                                     // 0000000077B4: 7E6C4136
	v_exp_f32_e32 v55, v55                                     // 0000000077B8: 7E6E4137
	v_exp_f32_e32 v56, v56                                     // 0000000077BC: 7E704138
	v_exp_f32_e32 v57, v57                                     // 0000000077C0: 7E724139
	v_exp_f32_e32 v58, v58                                     // 0000000077C4: 7E74413A
	v_exp_f32_e32 v59, v59                                     // 0000000077C8: 7E76413B
	v_mul_f32_e32 v4, v21, v4                                  // 0000000077CC: 0A080915
	v_mov_b32_e32 v35, v44                                     // 0000000077D0: 7E46032C
	v_add_f32_e32 v35, v45, v35                                // 0000000077D4: 0246472D
	v_add_f32_e32 v35, v46, v35                                // 0000000077D8: 0246472E
	v_add_f32_e32 v35, v47, v35                                // 0000000077DC: 0246472F
	v_add_f32_e32 v35, v48, v35                                // 0000000077E0: 02464730
	v_add_f32_e32 v35, v49, v35                                // 0000000077E4: 02464731
	v_add_f32_e32 v35, v50, v35                                // 0000000077E8: 02464732
	v_add_f32_e32 v35, v51, v35                                // 0000000077EC: 02464733
	v_add_f32_e32 v35, v52, v35                                // 0000000077F0: 02464734
	v_add_f32_e32 v35, v53, v35                                // 0000000077F4: 02464735
	v_add_f32_e32 v35, v54, v35                                // 0000000077F8: 02464736
	v_add_f32_e32 v35, v55, v35                                // 0000000077FC: 02464737
	v_add_f32_e32 v35, v56, v35                                // 000000007800: 02464738
	v_add_f32_e32 v35, v57, v35                                // 000000007804: 02464739
	v_add_f32_e32 v35, v58, v35                                // 000000007808: 0246473A
	v_add_f32_e32 v35, v59, v35                                // 00000000780C: 0246473B
	v_add_f32_e32 v4, v35, v4                                  // 000000007810: 02080923
	v_cvt_pk_fp8_f32 v44, v44, v45                             // 000000007814: D2A2002C 00025B2C
	v_cvt_pk_fp8_f32 v44, v46, v47 op_sel:[0,0,1]              // 00000000781C: D2A2402C 00025F2E
	v_cvt_pk_fp8_f32 v45, v48, v49                             // 000000007824: D2A2002D 00026330
	v_cvt_pk_fp8_f32 v45, v50, v51 op_sel:[0,0,1]              // 00000000782C: D2A2402D 00026732
	v_cvt_pk_fp8_f32 v46, v52, v53                             // 000000007834: D2A2002E 00026B34
	v_cvt_pk_fp8_f32 v46, v54, v55 op_sel:[0,0,1]              // 00000000783C: D2A2402E 00026F36
	v_cvt_pk_fp8_f32 v47, v56, v57                             // 000000007844: D2A2002F 00027338
	v_cvt_pk_fp8_f32 v47, v58, v59 op_sel:[0,0,1]              // 00000000784C: D2A2402F 0002773A
	ds_write_b128 v43, v[44:47] offset:1024                    // 000000007854: D9BE0400 00002C2B
	s_waitcnt lgkmcnt(0)                                       // 00000000785C: BF8CC07F
	s_barrier                                                  // 000000007860: BF8A0000
	ds_read_b128 v[44:47], v42 offset:1024                     // 000000007864: D9FE0400 2C00002A
	ds_read_b128 v[48:51], v42 offset:2048                     // 00000000786C: D9FE0800 3000002A
	s_waitcnt lgkmcnt(0)                                       // 000000007874: BF8CC07F
	v_permlane32_swap_b32_e32 v44, v46                         // 000000007878: 7E58B52E
	v_permlane32_swap_b32_e32 v45, v47                         // 00000000787C: 7E5AB52F
	v_swap_b32 v45, v46                                        // 000000007880: 7E5AA32E
	v_permlane32_swap_b32_e32 v48, v50                         // 000000007884: 7E60B532
	v_permlane32_swap_b32_e32 v49, v51                         // 000000007888: 7E62B533
	v_swap_b32 v49, v50                                        // 00000000788C: 7E62A332
	ds_read_b64_tr_b8 a[72:73], v5                             // 000000007890: DBC40000 48000005
	ds_read_b64_tr_b8 a[74:75], v6                             // 000000007898: DBC40000 4A000006
	ds_read_b64_tr_b8 a[76:77], v5 offset:18432                // 0000000078A0: DBC44800 4C000005
	ds_read_b64_tr_b8 a[78:79], v6 offset:18432                // 0000000078A8: DBC44800 4E000006
	ds_read_b64_tr_b8 a[80:81], v7                             // 0000000078B0: DBC40000 50000007
	ds_read_b64_tr_b8 a[82:83], v8                             // 0000000078B8: DBC40000 52000008
	ds_read_b64_tr_b8 a[84:85], v7 offset:18432                // 0000000078C0: DBC44800 54000007
	ds_read_b64_tr_b8 a[86:87], v8 offset:18432                // 0000000078C8: DBC44800 56000008
	ds_read_b64_tr_b8 a[88:89], v5 offset:1024                 // 0000000078D0: DBC40400 58000005
	ds_read_b64_tr_b8 a[90:91], v6 offset:1024                 // 0000000078D8: DBC40400 5A000006
	ds_read_b64_tr_b8 a[92:93], v5 offset:19456                // 0000000078E0: DBC44C00 5C000005
	ds_read_b64_tr_b8 a[94:95], v6 offset:19456                // 0000000078E8: DBC44C00 5E000006
	ds_read_b64_tr_b8 a[96:97], v7 offset:1024                 // 0000000078F0: DBC40400 60000007
	ds_read_b64_tr_b8 a[98:99], v8 offset:1024                 // 0000000078F8: DBC40400 62000008
	ds_read_b64_tr_b8 a[100:101], v7 offset:19456              // 000000007900: DBC44C00 64000007
	ds_read_b64_tr_b8 a[102:103], v8 offset:19456              // 000000007908: DBC44C00 66000008
	ds_read_b64_tr_b8 a[104:105], v5 offset:2048               // 000000007910: DBC40800 68000005
	ds_read_b64_tr_b8 a[106:107], v6 offset:2048               // 000000007918: DBC40800 6A000006
	ds_read_b64_tr_b8 a[108:109], v5 offset:20480              // 000000007920: DBC45000 6C000005
	ds_read_b64_tr_b8 a[110:111], v6 offset:20480              // 000000007928: DBC45000 6E000006
	ds_read_b64_tr_b8 a[112:113], v7 offset:2048               // 000000007930: DBC40800 70000007
	ds_read_b64_tr_b8 a[114:115], v8 offset:2048               // 000000007938: DBC40800 72000008
	ds_read_b64_tr_b8 a[116:117], v7 offset:20480              // 000000007940: DBC45000 74000007
	ds_read_b64_tr_b8 a[118:119], v8 offset:20480              // 000000007948: DBC45000 76000008
	ds_read_b64_tr_b8 a[120:121], v5 offset:3072               // 000000007950: DBC40C00 78000005
	ds_read_b64_tr_b8 a[122:123], v6 offset:3072               // 000000007958: DBC40C00 7A000006
	ds_read_b64_tr_b8 a[124:125], v5 offset:21504              // 000000007960: DBC45400 7C000005
	ds_read_b64_tr_b8 a[126:127], v6 offset:21504              // 000000007968: DBC45400 7E000006
	ds_read_b64_tr_b8 a[128:129], v7 offset:3072               // 000000007970: DBC40C00 80000007
	ds_read_b64_tr_b8 a[130:131], v8 offset:3072               // 000000007978: DBC40C00 82000008
	ds_read_b64_tr_b8 a[132:133], v7 offset:21504              // 000000007980: DBC45400 84000007
	ds_read_b64_tr_b8 a[134:135], v8 offset:21504              // 000000007988: DBC45400 86000008
	s_waitcnt lgkmcnt(4)                                       // 000000007990: BF8CC47F
	v_mfma_f32_32x32x64_f8f6f4 v[76:91], a[72:79], v[60:67], v[76:91]// 000000007994: D3AE004C 0D327948
	ds_read_b64_tr_b8 a[72:73], v9                             // 00000000799C: DBC40000 48000009
	ds_read_b64_tr_b8 a[74:75], v10                            // 0000000079A4: DBC40000 4A00000A
	ds_read_b64_tr_b8 a[76:77], v9 offset:18432                // 0000000079AC: DBC44800 4C000009
	ds_read_b64_tr_b8 a[78:79], v10 offset:18432               // 0000000079B4: DBC44800 4E00000A
	v_mfma_f32_32x32x64_f8f6f4 v[92:107], a[80:87], v[60:67], v[92:107]// 0000000079BC: D3AE005C 0D727950
	ds_read_b64_tr_b8 a[80:81], v11                            // 0000000079C4: DBC40000 5000000B
	ds_read_b64_tr_b8 a[82:83], v12                            // 0000000079CC: DBC40000 5200000C
	ds_read_b64_tr_b8 a[84:85], v11 offset:18432               // 0000000079D4: DBC44800 5400000B
	ds_read_b64_tr_b8 a[86:87], v12 offset:18432               // 0000000079DC: DBC44800 5600000C
	v_mfma_f32_32x32x64_f8f6f4 v[108:123], a[88:95], v[60:67], v[108:123]// 0000000079E4: D3AE006C 0DB27958
	ds_read_b64_tr_b8 a[88:89], v9 offset:1024                 // 0000000079EC: DBC40400 58000009
	ds_read_b64_tr_b8 a[90:91], v10 offset:1024                // 0000000079F4: DBC40400 5A00000A
	ds_read_b64_tr_b8 a[92:93], v9 offset:19456                // 0000000079FC: DBC44C00 5C000009
	ds_read_b64_tr_b8 a[94:95], v10 offset:19456               // 000000007A04: DBC44C00 5E00000A
	v_mfma_f32_32x32x64_f8f6f4 v[124:139], a[96:103], v[60:67], v[124:139]// 000000007A0C: D3AE007C 0DF27960
	ds_read_b64_tr_b8 a[96:97], v11 offset:1024                // 000000007A14: DBC40400 6000000B
	ds_read_b64_tr_b8 a[98:99], v12 offset:1024                // 000000007A1C: DBC40400 6200000C
	ds_read_b64_tr_b8 a[100:101], v11 offset:19456             // 000000007A24: DBC44C00 6400000B
	ds_read_b64_tr_b8 a[102:103], v12 offset:19456             // 000000007A2C: DBC44C00 6600000C
	v_mfma_f32_32x32x64_f8f6f4 v[140:155], a[104:111], v[60:67], v[140:155]// 000000007A34: D3AE008C 0E327968
	ds_read_b64_tr_b8 a[104:105], v9 offset:2048               // 000000007A3C: DBC40800 68000009
	ds_read_b64_tr_b8 a[106:107], v10 offset:2048              // 000000007A44: DBC40800 6A00000A
	ds_read_b64_tr_b8 a[108:109], v9 offset:20480              // 000000007A4C: DBC45000 6C000009
	ds_read_b64_tr_b8 a[110:111], v10 offset:20480             // 000000007A54: DBC45000 6E00000A
	v_mfma_f32_32x32x64_f8f6f4 v[156:171], a[112:119], v[60:67], v[156:171]// 000000007A5C: D3AE009C 0E727970
	ds_read_b64_tr_b8 a[112:113], v11 offset:2048              // 000000007A64: DBC40800 7000000B
	ds_read_b64_tr_b8 a[114:115], v12 offset:2048              // 000000007A6C: DBC40800 7200000C
	ds_read_b64_tr_b8 a[116:117], v11 offset:20480             // 000000007A74: DBC45000 7400000B
	ds_read_b64_tr_b8 a[118:119], v12 offset:20480             // 000000007A7C: DBC45000 7600000C
	v_mfma_f32_32x32x64_f8f6f4 v[172:187], a[120:127], v[60:67], v[172:187]// 000000007A84: D3AE00AC 0EB27978
	ds_read_b64_tr_b8 a[120:121], v9 offset:3072               // 000000007A8C: DBC40C00 78000009
	ds_read_b64_tr_b8 a[122:123], v10 offset:3072              // 000000007A94: DBC40C00 7A00000A
	ds_read_b64_tr_b8 a[124:125], v9 offset:21504              // 000000007A9C: DBC45400 7C000009
	ds_read_b64_tr_b8 a[126:127], v10 offset:21504             // 000000007AA4: DBC45400 7E00000A
	v_mfma_f32_32x32x64_f8f6f4 v[188:203], a[128:135], v[60:67], v[188:203]// 000000007AAC: D3AE00BC 0EF27980
	ds_read_b64_tr_b8 a[128:129], v11 offset:3072              // 000000007AB4: DBC40C00 8000000B
	ds_read_b64_tr_b8 a[130:131], v12 offset:3072              // 000000007ABC: DBC40C00 8200000C
	ds_read_b64_tr_b8 a[132:133], v11 offset:21504             // 000000007AC4: DBC45400 8400000B
	ds_read_b64_tr_b8 a[134:135], v12 offset:21504             // 000000007ACC: DBC45400 8600000C
	v_mov_b32_e32 v36, v21                                     // 000000007AD4: 7E480315
	v_mov_b32_e32 v37, v21                                     // 000000007AD8: 7E4A0315
	v_pk_mul_f32 v[76:77], v[36:37], v[76:77]                  // 000000007ADC: D3B1404C 18029924
	v_pk_mul_f32 v[78:79], v[36:37], v[78:79]                  // 000000007AE4: D3B1404E 18029D24
	v_pk_mul_f32 v[80:81], v[36:37], v[80:81]                  // 000000007AEC: D3B14050 1802A124
	v_pk_mul_f32 v[82:83], v[36:37], v[82:83]                  // 000000007AF4: D3B14052 1802A524
	v_pk_mul_f32 v[84:85], v[36:37], v[84:85]                  // 000000007AFC: D3B14054 1802A924
	v_pk_mul_f32 v[86:87], v[36:37], v[86:87]                  // 000000007B04: D3B14056 1802AD24
	v_pk_mul_f32 v[88:89], v[36:37], v[88:89]                  // 000000007B0C: D3B14058 1802B124
	v_pk_mul_f32 v[90:91], v[36:37], v[90:91]                  // 000000007B14: D3B1405A 1802B524
	v_pk_mul_f32 v[92:93], v[36:37], v[92:93]                  // 000000007B1C: D3B1405C 1802B924
	v_pk_mul_f32 v[94:95], v[36:37], v[94:95]                  // 000000007B24: D3B1405E 1802BD24
	v_pk_mul_f32 v[96:97], v[36:37], v[96:97]                  // 000000007B2C: D3B14060 1802C124
	v_pk_mul_f32 v[98:99], v[36:37], v[98:99]                  // 000000007B34: D3B14062 1802C524
	v_pk_mul_f32 v[100:101], v[36:37], v[100:101]              // 000000007B3C: D3B14064 1802C924
	v_pk_mul_f32 v[102:103], v[36:37], v[102:103]              // 000000007B44: D3B14066 1802CD24
	v_pk_mul_f32 v[104:105], v[36:37], v[104:105]              // 000000007B4C: D3B14068 1802D124
	v_pk_mul_f32 v[106:107], v[36:37], v[106:107]              // 000000007B54: D3B1406A 1802D524
	v_pk_mul_f32 v[108:109], v[36:37], v[108:109]              // 000000007B5C: D3B1406C 1802D924
	v_pk_mul_f32 v[110:111], v[36:37], v[110:111]              // 000000007B64: D3B1406E 1802DD24
	v_pk_mul_f32 v[112:113], v[36:37], v[112:113]              // 000000007B6C: D3B14070 1802E124
	v_pk_mul_f32 v[114:115], v[36:37], v[114:115]              // 000000007B74: D3B14072 1802E524
	v_pk_mul_f32 v[116:117], v[36:37], v[116:117]              // 000000007B7C: D3B14074 1802E924
	v_pk_mul_f32 v[118:119], v[36:37], v[118:119]              // 000000007B84: D3B14076 1802ED24
	v_pk_mul_f32 v[120:121], v[36:37], v[120:121]              // 000000007B8C: D3B14078 1802F124
	v_pk_mul_f32 v[122:123], v[36:37], v[122:123]              // 000000007B94: D3B1407A 1802F524
	v_pk_mul_f32 v[124:125], v[36:37], v[124:125]              // 000000007B9C: D3B1407C 1802F924
	v_pk_mul_f32 v[126:127], v[36:37], v[126:127]              // 000000007BA4: D3B1407E 1802FD24
	v_pk_mul_f32 v[128:129], v[36:37], v[128:129]              // 000000007BAC: D3B14080 18030124
	v_pk_mul_f32 v[130:131], v[36:37], v[130:131]              // 000000007BB4: D3B14082 18030524
	v_pk_mul_f32 v[132:133], v[36:37], v[132:133]              // 000000007BBC: D3B14084 18030924
	v_pk_mul_f32 v[134:135], v[36:37], v[134:135]              // 000000007BC4: D3B14086 18030D24
	v_pk_mul_f32 v[136:137], v[36:37], v[136:137]              // 000000007BCC: D3B14088 18031124
	v_pk_mul_f32 v[138:139], v[36:37], v[138:139]              // 000000007BD4: D3B1408A 18031524
	v_pk_mul_f32 v[140:141], v[36:37], v[140:141]              // 000000007BDC: D3B1408C 18031924
	v_pk_mul_f32 v[142:143], v[36:37], v[142:143]              // 000000007BE4: D3B1408E 18031D24
	v_pk_mul_f32 v[144:145], v[36:37], v[144:145]              // 000000007BEC: D3B14090 18032124
	v_pk_mul_f32 v[146:147], v[36:37], v[146:147]              // 000000007BF4: D3B14092 18032524
	v_pk_mul_f32 v[148:149], v[36:37], v[148:149]              // 000000007BFC: D3B14094 18032924
	v_pk_mul_f32 v[150:151], v[36:37], v[150:151]              // 000000007C04: D3B14096 18032D24
	v_pk_mul_f32 v[152:153], v[36:37], v[152:153]              // 000000007C0C: D3B14098 18033124
	v_pk_mul_f32 v[154:155], v[36:37], v[154:155]              // 000000007C14: D3B1409A 18033524
	v_pk_mul_f32 v[156:157], v[36:37], v[156:157]              // 000000007C1C: D3B1409C 18033924
	v_pk_mul_f32 v[158:159], v[36:37], v[158:159]              // 000000007C24: D3B1409E 18033D24
	v_pk_mul_f32 v[160:161], v[36:37], v[160:161]              // 000000007C2C: D3B140A0 18034124
	v_pk_mul_f32 v[162:163], v[36:37], v[162:163]              // 000000007C34: D3B140A2 18034524
	v_pk_mul_f32 v[164:165], v[36:37], v[164:165]              // 000000007C3C: D3B140A4 18034924
	v_pk_mul_f32 v[166:167], v[36:37], v[166:167]              // 000000007C44: D3B140A6 18034D24
	v_pk_mul_f32 v[168:169], v[36:37], v[168:169]              // 000000007C4C: D3B140A8 18035124
	v_pk_mul_f32 v[170:171], v[36:37], v[170:171]              // 000000007C54: D3B140AA 18035524
	v_pk_mul_f32 v[172:173], v[36:37], v[172:173]              // 000000007C5C: D3B140AC 18035924
	v_pk_mul_f32 v[174:175], v[36:37], v[174:175]              // 000000007C64: D3B140AE 18035D24
	v_pk_mul_f32 v[176:177], v[36:37], v[176:177]              // 000000007C6C: D3B140B0 18036124
	v_pk_mul_f32 v[178:179], v[36:37], v[178:179]              // 000000007C74: D3B140B2 18036524
	v_pk_mul_f32 v[180:181], v[36:37], v[180:181]              // 000000007C7C: D3B140B4 18036924
	v_pk_mul_f32 v[182:183], v[36:37], v[182:183]              // 000000007C84: D3B140B6 18036D24
	v_pk_mul_f32 v[184:185], v[36:37], v[184:185]              // 000000007C8C: D3B140B8 18037124
	v_pk_mul_f32 v[186:187], v[36:37], v[186:187]              // 000000007C94: D3B140BA 18037524
	v_pk_mul_f32 v[188:189], v[36:37], v[188:189]              // 000000007C9C: D3B140BC 18037924
	v_pk_mul_f32 v[190:191], v[36:37], v[190:191]              // 000000007CA4: D3B140BE 18037D24
	v_pk_mul_f32 v[192:193], v[36:37], v[192:193]              // 000000007CAC: D3B140C0 18038124
	v_pk_mul_f32 v[194:195], v[36:37], v[194:195]              // 000000007CB4: D3B140C2 18038524
	v_pk_mul_f32 v[196:197], v[36:37], v[196:197]              // 000000007CBC: D3B140C4 18038924
	v_pk_mul_f32 v[198:199], v[36:37], v[198:199]              // 000000007CC4: D3B140C6 18038D24
	v_pk_mul_f32 v[200:201], v[36:37], v[200:201]              // 000000007CCC: D3B140C8 18039124
	v_pk_mul_f32 v[202:203], v[36:37], v[202:203]              // 000000007CD4: D3B140CA 18039524
	s_waitcnt vmcnt(0)                                         // 000000007CDC: BF8C0F70
	s_barrier                                                  // 000000007CE0: BF8A0000
	v_mfma_f32_32x32x64_f8f6f4 v[76:91], a[72:79], v[44:51], v[76:91]// 000000007CE4: D3AE004C 0D325948
	ds_read_b128 a[72:75], v26                                 // 000000007CEC: DBFE0000 4800001A
	ds_read_b128 a[76:79], v27                                 // 000000007CF4: DBFE0000 4C00001B
	v_mfma_f32_32x32x64_f8f6f4 v[92:107], a[80:87], v[44:51], v[92:107]// 000000007CFC: D3AE005C 0D725950
	ds_read_b128 a[80:83], v26 offset:1024                     // 000000007D04: DBFE0400 5000001A
	ds_read_b128 a[84:87], v27 offset:1024                     // 000000007D0C: DBFE0400 5400001B
	v_mfma_f32_32x32x64_f8f6f4 v[108:123], a[88:95], v[44:51], v[108:123]// 000000007D14: D3AE006C 0DB25958
	ds_read_b128 a[88:91], v26 offset:2048                     // 000000007D1C: DBFE0800 5800001A
	ds_read_b128 a[92:95], v27 offset:2048                     // 000000007D24: DBFE0800 5C00001B
	v_mfma_f32_32x32x64_f8f6f4 v[124:139], a[96:103], v[44:51], v[124:139]// 000000007D2C: D3AE007C 0DF25960
	ds_read_b128 a[96:99], v26 offset:3072                     // 000000007D34: DBFE0C00 6000001A
	ds_read_b128 a[100:103], v27 offset:3072                   // 000000007D3C: DBFE0C00 6400001B
	v_mfma_f32_32x32x64_f8f6f4 v[140:155], a[104:111], v[44:51], v[140:155]// 000000007D44: D3AE008C 0E325968
	ds_read_b128 a[104:107], v26 offset:4096                   // 000000007D4C: DBFE1000 6800001A
	ds_read_b128 a[108:111], v27 offset:4096                   // 000000007D54: DBFE1000 6C00001B
	v_mfma_f32_32x32x64_f8f6f4 v[156:171], a[112:119], v[44:51], v[156:171]// 000000007D5C: D3AE009C 0E725970
	ds_read_b128 a[112:115], v26 offset:5120                   // 000000007D64: DBFE1400 7000001A
	ds_read_b128 a[116:119], v27 offset:5120                   // 000000007D6C: DBFE1400 7400001B
	v_mfma_f32_32x32x64_f8f6f4 v[172:187], a[120:127], v[44:51], v[172:187]// 000000007D74: D3AE00AC 0EB25978
	ds_read_b128 a[120:123], v26 offset:6144                   // 000000007D7C: DBFE1800 7800001A
	ds_read_b128 a[124:127], v27 offset:6144                   // 000000007D84: DBFE1800 7C00001B
	v_mfma_f32_32x32x64_f8f6f4 v[188:203], a[128:135], v[44:51], v[188:203]// 000000007D8C: D3AE00BC 0EF25980
	ds_read_b128 a[128:131], v26 offset:7168                   // 000000007D94: DBFE1C00 8000001A
	ds_read_b128 a[132:135], v27 offset:7168                   // 000000007D9C: DBFE1C00 8400001B
	ds_read_b128 a[136:139], v26 offset:8192                   // 000000007DA4: DBFE2000 8800001A
	ds_read_b128 a[140:143], v27 offset:8192                   // 000000007DAC: DBFE2000 8C00001B
	s_branch label_75F0                                        // 000000007DB4: BF82070E

0000000000007db8 <label_59B8>:
	s_mov_b32 s56, 64                                          // 000000007DB8: BEB800C0
	s_mul_i32 s83, s56, s71                                    // 000000007DBC: 92534738
	s_cmp_le_i32 s83, s82                                      // 000000007DC0: BF055253
	s_cbranch_scc1 label_5BAC                                  // 000000007DC4: BF850079
	s_mov_b32 s36, 0xffff0000                                  // 000000007DC8: BEA400FF FFFF0000
	s_mov_b32 s37, 0xffff0000                                  // 000000007DD0: BEA500FF FFFF0000
	v_mov_b32_e32 v36, s82                                     // 000000007DD8: 7E480252
	s_add_i32 s56, s82, 1                                      // 000000007DDC: 81388152
	v_mov_b32_e32 v37, s56                                     // 000000007DE0: 7E4A0238
	v_cndmask_b32_e64 v35, v36, v37, s[36:37]                  // 000000007DE4: D1000023 00924B24
	s_and_b32 s56, 2, s7                                       // 000000007DEC: 86380782
	v_add_i32 v35, s56, v35                                    // 000000007DF0: D29C0023 00024638
	s_sub_u32 s56, s83, 64                                     // 000000007DF8: 80B8C053
	v_lshrrev_b32_e32 v204, 5, v0                              // 000000007DFC: 21980085
	v_mul_i32_i24_e32 v204, 4, v204                            // 000000007E00: 0D999884
	v_add_u32_e32 v204, s56, v204                              // 000000007E04: 69999838
	s_and_b32 s56, s7, 1                                       // 000000007E08: 86388107
	s_mov_b32 s57, 32                                          // 000000007E0C: BEB900A0
	s_mul_i32 s56, s57, s56                                    // 000000007E10: 92383839
	v_add_u32_e32 v204, s56, v204                              // 000000007E14: 69999838
	v_add_u32_e32 v205, 1, v204                                // 000000007E18: 699B9881
	v_add_u32_e32 v206, 2, v204                                // 000000007E1C: 699D9882
	v_add_u32_e32 v207, 3, v204                                // 000000007E20: 699F9883
	v_mov_b32_e32 v37, 0xff800000                              // 000000007E24: 7E4A02FF FF800000
	v_cmp_le_i32_e64 s[36:37], v204, v35                       // 000000007E2C: D0C30024 000247CC
	s_nop 0                                                    // 000000007E34: BF800000
	v_cndmask_b32_e64 v60, v37, v60, s[36:37]                  // 000000007E38: D100003C 00927925
	v_add_u32_e32 v204, 8, v204                                // 000000007E40: 69999888
	v_cmp_le_i32_e64 s[36:37], v205, v35                       // 000000007E44: D0C30024 000247CD
	s_nop 0                                                    // 000000007E4C: BF800000
	v_cndmask_b32_e64 v61, v37, v61, s[36:37]                  // 000000007E50: D100003D 00927B25
	v_add_u32_e32 v205, 8, v205                                // 000000007E58: 699B9A88
	v_cmp_le_i32_e64 s[36:37], v206, v35                       // 000000007E5C: D0C30024 000247CE
	s_nop 0                                                    // 000000007E64: BF800000
	v_cndmask_b32_e64 v62, v37, v62, s[36:37]                  // 000000007E68: D100003E 00927D25
	v_add_u32_e32 v206, 8, v206                                // 000000007E70: 699D9C88
	v_cmp_le_i32_e64 s[36:37], v207, v35                       // 000000007E74: D0C30024 000247CF
	s_nop 0                                                    // 000000007E7C: BF800000
	v_cndmask_b32_e64 v63, v37, v63, s[36:37]                  // 000000007E80: D100003F 00927F25
	v_add_u32_e32 v207, 8, v207                                // 000000007E88: 699F9E88
	v_cmp_le_i32_e64 s[36:37], v204, v35                       // 000000007E8C: D0C30024 000247CC
	s_nop 0                                                    // 000000007E94: BF800000
	v_cndmask_b32_e64 v64, v37, v64, s[36:37]                  // 000000007E98: D1000040 00928125
	v_add_u32_e32 v204, 8, v204                                // 000000007EA0: 69999888
	v_cmp_le_i32_e64 s[36:37], v205, v35                       // 000000007EA4: D0C30024 000247CD
	s_nop 0                                                    // 000000007EAC: BF800000
	v_cndmask_b32_e64 v65, v37, v65, s[36:37]                  // 000000007EB0: D1000041 00928325
	v_add_u32_e32 v205, 8, v205                                // 000000007EB8: 699B9A88
	v_cmp_le_i32_e64 s[36:37], v206, v35                       // 000000007EBC: D0C30024 000247CE
	s_nop 0                                                    // 000000007EC4: BF800000
	v_cndmask_b32_e64 v66, v37, v66, s[36:37]                  // 000000007EC8: D1000042 00928525
	v_add_u32_e32 v206, 8, v206                                // 000000007ED0: 699D9C88
	v_cmp_le_i32_e64 s[36:37], v207, v35                       // 000000007ED4: D0C30024 000247CF
	s_nop 0                                                    // 000000007EDC: BF800000
	v_cndmask_b32_e64 v67, v37, v67, s[36:37]                  // 000000007EE0: D1000043 00928725
	v_add_u32_e32 v207, 8, v207                                // 000000007EE8: 699F9E88
	v_cmp_le_i32_e64 s[36:37], v204, v35                       // 000000007EEC: D0C30024 000247CC
	s_nop 0                                                    // 000000007EF4: BF800000
	v_cndmask_b32_e64 v68, v37, v68, s[36:37]                  // 000000007EF8: D1000044 00928925
	v_add_u32_e32 v204, 8, v204                                // 000000007F00: 69999888
	v_cmp_le_i32_e64 s[36:37], v205, v35                       // 000000007F04: D0C30024 000247CD
	s_nop 0                                                    // 000000007F0C: BF800000
	v_cndmask_b32_e64 v69, v37, v69, s[36:37]                  // 000000007F10: D1000045 00928B25
	v_add_u32_e32 v205, 8, v205                                // 000000007F18: 699B9A88
	v_cmp_le_i32_e64 s[36:37], v206, v35                       // 000000007F1C: D0C30024 000247CE
	s_nop 0                                                    // 000000007F24: BF800000
	v_cndmask_b32_e64 v70, v37, v70, s[36:37]                  // 000000007F28: D1000046 00928D25
	v_add_u32_e32 v206, 8, v206                                // 000000007F30: 699D9C88
	v_cmp_le_i32_e64 s[36:37], v207, v35                       // 000000007F34: D0C30024 000247CF
	s_nop 0                                                    // 000000007F3C: BF800000
	v_cndmask_b32_e64 v71, v37, v71, s[36:37]                  // 000000007F40: D1000047 00928F25
	v_add_u32_e32 v207, 8, v207                                // 000000007F48: 699F9E88
	v_cmp_le_i32_e64 s[36:37], v204, v35                       // 000000007F4C: D0C30024 000247CC
	s_nop 0                                                    // 000000007F54: BF800000
	v_cndmask_b32_e64 v72, v37, v72, s[36:37]                  // 000000007F58: D1000048 00929125
	v_add_u32_e32 v204, 8, v204                                // 000000007F60: 69999888
	v_cmp_le_i32_e64 s[36:37], v205, v35                       // 000000007F64: D0C30024 000247CD
	s_nop 0                                                    // 000000007F6C: BF800000
	v_cndmask_b32_e64 v73, v37, v73, s[36:37]                  // 000000007F70: D1000049 00929325
	v_add_u32_e32 v205, 8, v205                                // 000000007F78: 699B9A88
	v_cmp_le_i32_e64 s[36:37], v206, v35                       // 000000007F7C: D0C30024 000247CE
	s_nop 0                                                    // 000000007F84: BF800000
	v_cndmask_b32_e64 v74, v37, v74, s[36:37]                  // 000000007F88: D100004A 00929525
	v_add_u32_e32 v206, 8, v206                                // 000000007F90: 699D9C88
	v_cmp_le_i32_e64 s[36:37], v207, v35                       // 000000007F94: D0C30024 000247CF
	s_nop 0                                                    // 000000007F9C: BF800000
	v_cndmask_b32_e64 v75, v37, v75, s[36:37]                  // 000000007FA0: D100004B 00929725
	v_add_u32_e32 v207, 8, v207                                // 000000007FA8: 699F9E88

0000000000007fac <label_5BAC>:
	s_add_u32 s83, s84, s83                                    // 000000007FAC: 80535354
	s_nop 2                                                    // 000000007FB0: BF800002
	v_mov_b32_e32 v213, v60                                    // 000000007FB4: 7FAA033C
	v_max3_f32 v213, v60, v61, v213                            // 000000007FB8: D1D300D5 07567B3C
	v_max3_f32 v213, v62, v63, v213                            // 000000007FC0: D1D300D5 07567F3E
	v_max3_f32 v213, v64, v65, v213                            // 000000007FC8: D1D300D5 07568340
	v_max3_f32 v213, v66, v67, v213                            // 000000007FD0: D1D300D5 07568742
	v_max3_f32 v213, v68, v69, v213                            // 000000007FD8: D1D300D5 07568B44
	v_max3_f32 v213, v70, v71, v213                            // 000000007FE0: D1D300D5 07568F46
	v_max3_f32 v213, v72, v73, v213                            // 000000007FE8: D1D300D5 07569348
	v_max3_f32 v213, v74, v75, v213                            // 000000007FF0: D1D300D5 0756974A
	v_mov_b32_e32 v35, v213                                    // 000000007FF8: 7E4603D5
	v_mov_b32_e32 v36, v213                                    // 000000007FFC: 7E4803D5
	s_nop 1                                                    // 000000008000: BF800001
	v_permlane32_swap_b32_e32 v35, v36                         // 000000008004: 7E46B524
	v_max3_f32 v213, v35, v36, v213                            // 000000008008: D1D300D5 07564923
	ds_write_b32 v41, v213                                     // 000000008010: D81A0000 0000D529
	s_waitcnt lgkmcnt(0)                                       // 000000008018: BF8CC07F
	s_barrier                                                  // 00000000801C: BF8A0000
	ds_read_b32 v35, v40                                       // 000000008020: D86C0000 23000028
	ds_read_b32 v36, v40 offset:256                            // 000000008028: D86C0100 24000028
	s_waitcnt lgkmcnt(0)                                       // 000000008030: BF8CC07F
	v_max3_f32 v213, v35, v36, v213                            // 000000008034: D1D300D5 07564923
	v_mov_b32_e32 v35, 0xff800000                              // 00000000803C: 7E4602FF FF800000
	v_cmp_eq_u32_e64 s[36:37], v35, v2                         // 000000008044: D0CA0024 00020523
	v_max_f32_e32 v216, v213, v2                               // 00000000804C: 17B005D5
	v_sub_f32_e32 v21, v2, v216                                // 000000008050: 042BB102
	v_cndmask_b32_e64 v21, v21, 0, s[36:37]                    // 000000008054: D1000015 00910115
	v_mov_b32_e32 v2, v216                                     // 00000000805C: 7E0403D8
	v_mul_f32_e32 v212, s5, v216                               // 000000008060: 0BA9B005
	v_mul_f32_e32 v21, s5, v21                                 // 000000008064: 0A2A2A05
	v_exp_f32_e32 v21, v21                                     // 000000008068: 7E2A4115
	v_fma_f32 v60, v60, s5, -v212                              // 00000000806C: D1CB003C 87500B3C
	v_fma_f32 v61, v61, s5, -v212                              // 000000008074: D1CB003D 87500B3D
	v_fma_f32 v62, v62, s5, -v212                              // 00000000807C: D1CB003E 87500B3E
	v_fma_f32 v63, v63, s5, -v212                              // 000000008084: D1CB003F 87500B3F
	v_fma_f32 v64, v64, s5, -v212                              // 00000000808C: D1CB0040 87500B40
	v_fma_f32 v65, v65, s5, -v212                              // 000000008094: D1CB0041 87500B41
	v_fma_f32 v66, v66, s5, -v212                              // 00000000809C: D1CB0042 87500B42
	v_fma_f32 v67, v67, s5, -v212                              // 0000000080A4: D1CB0043 87500B43
	v_fma_f32 v68, v68, s5, -v212                              // 0000000080AC: D1CB0044 87500B44
	v_fma_f32 v69, v69, s5, -v212                              // 0000000080B4: D1CB0045 87500B45
	v_fma_f32 v70, v70, s5, -v212                              // 0000000080BC: D1CB0046 87500B46
	v_fma_f32 v71, v71, s5, -v212                              // 0000000080C4: D1CB0047 87500B47
	v_fma_f32 v72, v72, s5, -v212                              // 0000000080CC: D1CB0048 87500B48
	v_fma_f32 v73, v73, s5, -v212                              // 0000000080D4: D1CB0049 87500B49
	v_fma_f32 v74, v74, s5, -v212                              // 0000000080DC: D1CB004A 87500B4A
	v_fma_f32 v75, v75, s5, -v212                              // 0000000080E4: D1CB004B 87500B4B
	v_mov_b32_e32 v35, 0xffc00000                              // 0000000080EC: 7E4602FF FFC00000
	v_exp_f32_e32 v60, v60                                     // 0000000080F4: 7E78413C
	v_exp_f32_e32 v61, v61                                     // 0000000080F8: 7E7A413D
	v_exp_f32_e32 v62, v62                                     // 0000000080FC: 7E7C413E
	v_exp_f32_e32 v63, v63                                     // 000000008100: 7E7E413F
	v_exp_f32_e32 v64, v64                                     // 000000008104: 7E804140
	v_exp_f32_e32 v65, v65                                     // 000000008108: 7E824141
	v_exp_f32_e32 v66, v66                                     // 00000000810C: 7E844142
	v_exp_f32_e32 v67, v67                                     // 000000008110: 7E864143
	v_exp_f32_e32 v68, v68                                     // 000000008114: 7E884144
	v_exp_f32_e32 v69, v69                                     // 000000008118: 7E8A4145
	v_exp_f32_e32 v70, v70                                     // 00000000811C: 7E8C4146
	v_exp_f32_e32 v71, v71                                     // 000000008120: 7E8E4147
	v_exp_f32_e32 v72, v72                                     // 000000008124: 7E904148
	v_exp_f32_e32 v73, v73                                     // 000000008128: 7E924149
	v_exp_f32_e32 v74, v74                                     // 00000000812C: 7E94414A
	v_exp_f32_e32 v75, v75                                     // 000000008130: 7E96414B
	v_mul_f32_e32 v4, v21, v4                                  // 000000008134: 0A080915
	v_mov_b32_e32 v35, v60                                     // 000000008138: 7E46033C
	v_add_f32_e32 v35, v61, v35                                // 00000000813C: 0246473D
	v_add_f32_e32 v35, v62, v35                                // 000000008140: 0246473E
	v_add_f32_e32 v35, v63, v35                                // 000000008144: 0246473F
	v_add_f32_e32 v35, v64, v35                                // 000000008148: 02464740
	v_add_f32_e32 v35, v65, v35                                // 00000000814C: 02464741
	v_add_f32_e32 v35, v66, v35                                // 000000008150: 02464742
	v_add_f32_e32 v35, v67, v35                                // 000000008154: 02464743
	;; [unrolled: 1-line block ×3, first 2 shown]
	v_add_f32_e32 v35, v69, v35                                // 00000000815C: 02464745
	v_add_f32_e32 v35, v70, v35                                // 000000008160: 02464746
	v_add_f32_e32 v35, v71, v35                                // 000000008164: 02464747
	;; [unrolled: 1-line block ×3, first 2 shown]
	v_add_f32_e32 v35, v73, v35                                // 00000000816C: 02464749
	v_add_f32_e32 v35, v74, v35                                // 000000008170: 0246474A
	v_add_f32_e32 v35, v75, v35                                // 000000008174: 0246474B
	v_add_f32_e32 v4, v35, v4                                  // 000000008178: 02080923
	v_cvt_pk_fp8_f32 v60, v60, v61                             // 00000000817C: D2A2003C 00027B3C
	v_cvt_pk_fp8_f32 v60, v62, v63 op_sel:[0,0,1]              // 000000008184: D2A2403C 00027F3E
	v_cvt_pk_fp8_f32 v61, v64, v65                             // 00000000818C: D2A2003D 00028340
	v_cvt_pk_fp8_f32 v61, v66, v67 op_sel:[0,0,1]              // 000000008194: D2A2403D 00028742
	v_cvt_pk_fp8_f32 v62, v68, v69                             // 00000000819C: D2A2003E 00028B44
	v_cvt_pk_fp8_f32 v62, v70, v71 op_sel:[0,0,1]              // 0000000081A4: D2A2403E 00028F46
	v_cvt_pk_fp8_f32 v63, v72, v73                             // 0000000081AC: D2A2003F 00029348
	v_cvt_pk_fp8_f32 v63, v74, v75 op_sel:[0,0,1]              // 0000000081B4: D2A2403F 0002974A
	ds_write_b128 v43, v[60:63] offset:1024                    // 0000000081BC: D9BE0400 00003C2B
	s_waitcnt lgkmcnt(0)                                       // 0000000081C4: BF8CC07F
	s_barrier                                                  // 0000000081C8: BF8A0000
	ds_read_b128 v[60:63], v42 offset:1024                     // 0000000081CC: D9FE0400 3C00002A
	ds_read_b128 v[64:67], v42 offset:2048                     // 0000000081D4: D9FE0800 4000002A
	s_waitcnt lgkmcnt(0)                                       // 0000000081DC: BF8CC07F
	v_permlane32_swap_b32_e32 v60, v62                         // 0000000081E0: 7E78B53E
	v_permlane32_swap_b32_e32 v61, v63                         // 0000000081E4: 7E7AB53F
	v_swap_b32 v61, v62                                        // 0000000081E8: 7E7AA33E
	v_permlane32_swap_b32_e32 v64, v66                         // 0000000081EC: 7E80B542
	v_permlane32_swap_b32_e32 v65, v67                         // 0000000081F0: 7E82B543
	v_swap_b32 v65, v66                                        // 0000000081F4: 7E82A342
	ds_read_b64_tr_b8 a[72:73], v9                             // 0000000081F8: DBC40000 48000009
	ds_read_b64_tr_b8 a[74:75], v10                            // 000000008200: DBC40000 4A00000A
	ds_read_b64_tr_b8 a[76:77], v9 offset:18432                // 000000008208: DBC44800 4C000009
	ds_read_b64_tr_b8 a[78:79], v10 offset:18432               // 000000008210: DBC44800 4E00000A
	ds_read_b64_tr_b8 a[80:81], v11                            // 000000008218: DBC40000 5000000B
	ds_read_b64_tr_b8 a[82:83], v12                            // 000000008220: DBC40000 5200000C
	ds_read_b64_tr_b8 a[84:85], v11 offset:18432               // 000000008228: DBC44800 5400000B
	ds_read_b64_tr_b8 a[86:87], v12 offset:18432               // 000000008230: DBC44800 5600000C
	ds_read_b64_tr_b8 a[88:89], v9 offset:1024                 // 000000008238: DBC40400 58000009
	ds_read_b64_tr_b8 a[90:91], v10 offset:1024                // 000000008240: DBC40400 5A00000A
	ds_read_b64_tr_b8 a[92:93], v9 offset:19456                // 000000008248: DBC44C00 5C000009
	ds_read_b64_tr_b8 a[94:95], v10 offset:19456               // 000000008250: DBC44C00 5E00000A
	ds_read_b64_tr_b8 a[96:97], v11 offset:1024                // 000000008258: DBC40400 6000000B
	ds_read_b64_tr_b8 a[98:99], v12 offset:1024                // 000000008260: DBC40400 6200000C
	ds_read_b64_tr_b8 a[100:101], v11 offset:19456             // 000000008268: DBC44C00 6400000B
	ds_read_b64_tr_b8 a[102:103], v12 offset:19456             // 000000008270: DBC44C00 6600000C
	ds_read_b64_tr_b8 a[104:105], v9 offset:2048               // 000000008278: DBC40800 68000009
	ds_read_b64_tr_b8 a[106:107], v10 offset:2048              // 000000008280: DBC40800 6A00000A
	ds_read_b64_tr_b8 a[108:109], v9 offset:20480              // 000000008288: DBC45000 6C000009
	ds_read_b64_tr_b8 a[110:111], v10 offset:20480             // 000000008290: DBC45000 6E00000A
	ds_read_b64_tr_b8 a[112:113], v11 offset:2048              // 000000008298: DBC40800 7000000B
	ds_read_b64_tr_b8 a[114:115], v12 offset:2048              // 0000000082A0: DBC40800 7200000C
	ds_read_b64_tr_b8 a[116:117], v11 offset:20480             // 0000000082A8: DBC45000 7400000B
	ds_read_b64_tr_b8 a[118:119], v12 offset:20480             // 0000000082B0: DBC45000 7600000C
	ds_read_b64_tr_b8 a[120:121], v9 offset:3072               // 0000000082B8: DBC40C00 78000009
	ds_read_b64_tr_b8 a[122:123], v10 offset:3072              // 0000000082C0: DBC40C00 7A00000A
	ds_read_b64_tr_b8 a[124:125], v9 offset:21504              // 0000000082C8: DBC45400 7C000009
	ds_read_b64_tr_b8 a[126:127], v10 offset:21504             // 0000000082D0: DBC45400 7E00000A
	ds_read_b64_tr_b8 a[128:129], v11 offset:3072              // 0000000082D8: DBC40C00 8000000B
	ds_read_b64_tr_b8 a[130:131], v12 offset:3072              // 0000000082E0: DBC40C00 8200000C
	ds_read_b64_tr_b8 a[132:133], v11 offset:21504             // 0000000082E8: DBC45400 8400000B
	ds_read_b64_tr_b8 a[134:135], v12 offset:21504             // 0000000082F0: DBC45400 8600000C
	s_waitcnt lgkmcnt(4)                                       // 0000000082F8: BF8CC47F
	v_mfma_f32_32x32x64_f8f6f4 v[76:91], a[72:79], v[44:51], v[76:91]// 0000000082FC: D3AE004C 0D325948
	ds_read_b64_tr_b8 a[72:73], v13                            // 000000008304: DBC40000 4800000D
	ds_read_b64_tr_b8 a[74:75], v14                            // 00000000830C: DBC40000 4A00000E
	ds_read_b64_tr_b8 a[76:77], v13 offset:18432               // 000000008314: DBC44800 4C00000D
	ds_read_b64_tr_b8 a[78:79], v14 offset:18432               // 00000000831C: DBC44800 4E00000E
	v_mfma_f32_32x32x64_f8f6f4 v[92:107], a[80:87], v[44:51], v[92:107]// 000000008324: D3AE005C 0D725950
	ds_read_b64_tr_b8 a[80:81], v15                            // 00000000832C: DBC40000 5000000F
	ds_read_b64_tr_b8 a[82:83], v16                            // 000000008334: DBC40000 52000010
	ds_read_b64_tr_b8 a[84:85], v15 offset:18432               // 00000000833C: DBC44800 5400000F
	ds_read_b64_tr_b8 a[86:87], v16 offset:18432               // 000000008344: DBC44800 56000010
	v_mfma_f32_32x32x64_f8f6f4 v[108:123], a[88:95], v[44:51], v[108:123]// 00000000834C: D3AE006C 0DB25958
	ds_read_b64_tr_b8 a[88:89], v13 offset:1024                // 000000008354: DBC40400 5800000D
	ds_read_b64_tr_b8 a[90:91], v14 offset:1024                // 00000000835C: DBC40400 5A00000E
	ds_read_b64_tr_b8 a[92:93], v13 offset:19456               // 000000008364: DBC44C00 5C00000D
	ds_read_b64_tr_b8 a[94:95], v14 offset:19456               // 00000000836C: DBC44C00 5E00000E
	v_mfma_f32_32x32x64_f8f6f4 v[124:139], a[96:103], v[44:51], v[124:139]// 000000008374: D3AE007C 0DF25960
	ds_read_b64_tr_b8 a[96:97], v15 offset:1024                // 00000000837C: DBC40400 6000000F
	ds_read_b64_tr_b8 a[98:99], v16 offset:1024                // 000000008384: DBC40400 62000010
	ds_read_b64_tr_b8 a[100:101], v15 offset:19456             // 00000000838C: DBC44C00 6400000F
	ds_read_b64_tr_b8 a[102:103], v16 offset:19456             // 000000008394: DBC44C00 66000010
	v_mfma_f32_32x32x64_f8f6f4 v[140:155], a[104:111], v[44:51], v[140:155]// 00000000839C: D3AE008C 0E325968
	ds_read_b64_tr_b8 a[104:105], v13 offset:2048              // 0000000083A4: DBC40800 6800000D
	ds_read_b64_tr_b8 a[106:107], v14 offset:2048              // 0000000083AC: DBC40800 6A00000E
	ds_read_b64_tr_b8 a[108:109], v13 offset:20480             // 0000000083B4: DBC45000 6C00000D
	ds_read_b64_tr_b8 a[110:111], v14 offset:20480             // 0000000083BC: DBC45000 6E00000E
	v_mfma_f32_32x32x64_f8f6f4 v[156:171], a[112:119], v[44:51], v[156:171]// 0000000083C4: D3AE009C 0E725970
	ds_read_b64_tr_b8 a[112:113], v15 offset:2048              // 0000000083CC: DBC40800 7000000F
	ds_read_b64_tr_b8 a[114:115], v16 offset:2048              // 0000000083D4: DBC40800 72000010
	ds_read_b64_tr_b8 a[116:117], v15 offset:20480             // 0000000083DC: DBC45000 7400000F
	ds_read_b64_tr_b8 a[118:119], v16 offset:20480             // 0000000083E4: DBC45000 76000010
	v_mfma_f32_32x32x64_f8f6f4 v[172:187], a[120:127], v[44:51], v[172:187]// 0000000083EC: D3AE00AC 0EB25978
	ds_read_b64_tr_b8 a[120:121], v13 offset:3072              // 0000000083F4: DBC40C00 7800000D
	ds_read_b64_tr_b8 a[122:123], v14 offset:3072              // 0000000083FC: DBC40C00 7A00000E
	ds_read_b64_tr_b8 a[124:125], v13 offset:21504             // 000000008404: DBC45400 7C00000D
	ds_read_b64_tr_b8 a[126:127], v14 offset:21504             // 00000000840C: DBC45400 7E00000E
	v_mfma_f32_32x32x64_f8f6f4 v[188:203], a[128:135], v[44:51], v[188:203]// 000000008414: D3AE00BC 0EF25980
	ds_read_b64_tr_b8 a[128:129], v15 offset:3072              // 00000000841C: DBC40C00 8000000F
	ds_read_b64_tr_b8 a[130:131], v16 offset:3072              // 000000008424: DBC40C00 82000010
	ds_read_b64_tr_b8 a[132:133], v15 offset:21504             // 00000000842C: DBC45400 8400000F
	ds_read_b64_tr_b8 a[134:135], v16 offset:21504             // 000000008434: DBC45400 86000010
	v_mov_b32_e32 v36, v21                                     // 00000000843C: 7E480315
	v_mov_b32_e32 v37, v21                                     // 000000008440: 7E4A0315
	v_pk_mul_f32 v[76:77], v[36:37], v[76:77]                  // 000000008444: D3B1404C 18029924
	v_pk_mul_f32 v[78:79], v[36:37], v[78:79]                  // 00000000844C: D3B1404E 18029D24
	v_pk_mul_f32 v[80:81], v[36:37], v[80:81]                  // 000000008454: D3B14050 1802A124
	v_pk_mul_f32 v[82:83], v[36:37], v[82:83]                  // 00000000845C: D3B14052 1802A524
	v_pk_mul_f32 v[84:85], v[36:37], v[84:85]                  // 000000008464: D3B14054 1802A924
	v_pk_mul_f32 v[86:87], v[36:37], v[86:87]                  // 00000000846C: D3B14056 1802AD24
	v_pk_mul_f32 v[88:89], v[36:37], v[88:89]                  // 000000008474: D3B14058 1802B124
	v_pk_mul_f32 v[90:91], v[36:37], v[90:91]                  // 00000000847C: D3B1405A 1802B524
	v_pk_mul_f32 v[92:93], v[36:37], v[92:93]                  // 000000008484: D3B1405C 1802B924
	v_pk_mul_f32 v[94:95], v[36:37], v[94:95]                  // 00000000848C: D3B1405E 1802BD24
	v_pk_mul_f32 v[96:97], v[36:37], v[96:97]                  // 000000008494: D3B14060 1802C124
	v_pk_mul_f32 v[98:99], v[36:37], v[98:99]                  // 00000000849C: D3B14062 1802C524
	v_pk_mul_f32 v[100:101], v[36:37], v[100:101]              // 0000000084A4: D3B14064 1802C924
	v_pk_mul_f32 v[102:103], v[36:37], v[102:103]              // 0000000084AC: D3B14066 1802CD24
	v_pk_mul_f32 v[104:105], v[36:37], v[104:105]              // 0000000084B4: D3B14068 1802D124
	v_pk_mul_f32 v[106:107], v[36:37], v[106:107]              // 0000000084BC: D3B1406A 1802D524
	v_pk_mul_f32 v[108:109], v[36:37], v[108:109]              // 0000000084C4: D3B1406C 1802D924
	v_pk_mul_f32 v[110:111], v[36:37], v[110:111]              // 0000000084CC: D3B1406E 1802DD24
	v_pk_mul_f32 v[112:113], v[36:37], v[112:113]              // 0000000084D4: D3B14070 1802E124
	v_pk_mul_f32 v[114:115], v[36:37], v[114:115]              // 0000000084DC: D3B14072 1802E524
	v_pk_mul_f32 v[116:117], v[36:37], v[116:117]              // 0000000084E4: D3B14074 1802E924
	v_pk_mul_f32 v[118:119], v[36:37], v[118:119]              // 0000000084EC: D3B14076 1802ED24
	v_pk_mul_f32 v[120:121], v[36:37], v[120:121]              // 0000000084F4: D3B14078 1802F124
	v_pk_mul_f32 v[122:123], v[36:37], v[122:123]              // 0000000084FC: D3B1407A 1802F524
	v_pk_mul_f32 v[124:125], v[36:37], v[124:125]              // 000000008504: D3B1407C 1802F924
	v_pk_mul_f32 v[126:127], v[36:37], v[126:127]              // 00000000850C: D3B1407E 1802FD24
	v_pk_mul_f32 v[128:129], v[36:37], v[128:129]              // 000000008514: D3B14080 18030124
	v_pk_mul_f32 v[130:131], v[36:37], v[130:131]              // 00000000851C: D3B14082 18030524
	v_pk_mul_f32 v[132:133], v[36:37], v[132:133]              // 000000008524: D3B14084 18030924
	v_pk_mul_f32 v[134:135], v[36:37], v[134:135]              // 00000000852C: D3B14086 18030D24
	v_pk_mul_f32 v[136:137], v[36:37], v[136:137]              // 000000008534: D3B14088 18031124
	v_pk_mul_f32 v[138:139], v[36:37], v[138:139]              // 00000000853C: D3B1408A 18031524
	v_pk_mul_f32 v[140:141], v[36:37], v[140:141]              // 000000008544: D3B1408C 18031924
	v_pk_mul_f32 v[142:143], v[36:37], v[142:143]              // 00000000854C: D3B1408E 18031D24
	v_pk_mul_f32 v[144:145], v[36:37], v[144:145]              // 000000008554: D3B14090 18032124
	v_pk_mul_f32 v[146:147], v[36:37], v[146:147]              // 00000000855C: D3B14092 18032524
	v_pk_mul_f32 v[148:149], v[36:37], v[148:149]              // 000000008564: D3B14094 18032924
	v_pk_mul_f32 v[150:151], v[36:37], v[150:151]              // 00000000856C: D3B14096 18032D24
	v_pk_mul_f32 v[152:153], v[36:37], v[152:153]              // 000000008574: D3B14098 18033124
	v_pk_mul_f32 v[154:155], v[36:37], v[154:155]              // 00000000857C: D3B1409A 18033524
	v_pk_mul_f32 v[156:157], v[36:37], v[156:157]              // 000000008584: D3B1409C 18033924
	v_pk_mul_f32 v[158:159], v[36:37], v[158:159]              // 00000000858C: D3B1409E 18033D24
	v_pk_mul_f32 v[160:161], v[36:37], v[160:161]              // 000000008594: D3B140A0 18034124
	v_pk_mul_f32 v[162:163], v[36:37], v[162:163]              // 00000000859C: D3B140A2 18034524
	v_pk_mul_f32 v[164:165], v[36:37], v[164:165]              // 0000000085A4: D3B140A4 18034924
	v_pk_mul_f32 v[166:167], v[36:37], v[166:167]              // 0000000085AC: D3B140A6 18034D24
	v_pk_mul_f32 v[168:169], v[36:37], v[168:169]              // 0000000085B4: D3B140A8 18035124
	v_pk_mul_f32 v[170:171], v[36:37], v[170:171]              // 0000000085BC: D3B140AA 18035524
	v_pk_mul_f32 v[172:173], v[36:37], v[172:173]              // 0000000085C4: D3B140AC 18035924
	v_pk_mul_f32 v[174:175], v[36:37], v[174:175]              // 0000000085CC: D3B140AE 18035D24
	v_pk_mul_f32 v[176:177], v[36:37], v[176:177]              // 0000000085D4: D3B140B0 18036124
	v_pk_mul_f32 v[178:179], v[36:37], v[178:179]              // 0000000085DC: D3B140B2 18036524
	v_pk_mul_f32 v[180:181], v[36:37], v[180:181]              // 0000000085E4: D3B140B4 18036924
	v_pk_mul_f32 v[182:183], v[36:37], v[182:183]              // 0000000085EC: D3B140B6 18036D24
	v_pk_mul_f32 v[184:185], v[36:37], v[184:185]              // 0000000085F4: D3B140B8 18037124
	v_pk_mul_f32 v[186:187], v[36:37], v[186:187]              // 0000000085FC: D3B140BA 18037524
	v_pk_mul_f32 v[188:189], v[36:37], v[188:189]              // 000000008604: D3B140BC 18037924
	v_pk_mul_f32 v[190:191], v[36:37], v[190:191]              // 00000000860C: D3B140BE 18037D24
	v_pk_mul_f32 v[192:193], v[36:37], v[192:193]              // 000000008614: D3B140C0 18038124
	v_pk_mul_f32 v[194:195], v[36:37], v[194:195]              // 00000000861C: D3B140C2 18038524
	v_pk_mul_f32 v[196:197], v[36:37], v[196:197]              // 000000008624: D3B140C4 18038924
	v_pk_mul_f32 v[198:199], v[36:37], v[198:199]              // 00000000862C: D3B140C6 18038D24
	v_pk_mul_f32 v[200:201], v[36:37], v[200:201]              // 000000008634: D3B140C8 18039124
	v_pk_mul_f32 v[202:203], v[36:37], v[202:203]              // 00000000863C: D3B140CA 18039524
	s_waitcnt vmcnt(0)                                         // 000000008644: BF8C0F70
	s_barrier                                                  // 000000008648: BF8A0000
	v_mfma_f32_32x32x64_f8f6f4 v[76:91], a[72:79], v[60:67], v[76:91]// 00000000864C: D3AE004C 0D327948
	ds_read_b128 a[72:75], v28                                 // 000000008654: DBFE0000 4800001C
	ds_read_b128 a[76:79], v29                                 // 00000000865C: DBFE0000 4C00001D
	v_mfma_f32_32x32x64_f8f6f4 v[92:107], a[80:87], v[60:67], v[92:107]// 000000008664: D3AE005C 0D727950
	ds_read_b128 a[80:83], v28 offset:1024                     // 00000000866C: DBFE0400 5000001C
	ds_read_b128 a[84:87], v29 offset:1024                     // 000000008674: DBFE0400 5400001D
	v_mfma_f32_32x32x64_f8f6f4 v[108:123], a[88:95], v[60:67], v[108:123]// 00000000867C: D3AE006C 0DB27958
	ds_read_b128 a[88:91], v28 offset:2048                     // 000000008684: DBFE0800 5800001C
	ds_read_b128 a[92:95], v29 offset:2048                     // 00000000868C: DBFE0800 5C00001D
	v_mfma_f32_32x32x64_f8f6f4 v[124:139], a[96:103], v[60:67], v[124:139]// 000000008694: D3AE007C 0DF27960
	ds_read_b128 a[96:99], v28 offset:3072                     // 00000000869C: DBFE0C00 6000001C
	ds_read_b128 a[100:103], v29 offset:3072                   // 0000000086A4: DBFE0C00 6400001D
	v_mfma_f32_32x32x64_f8f6f4 v[140:155], a[104:111], v[60:67], v[140:155]// 0000000086AC: D3AE008C 0E327968
	ds_read_b128 a[104:107], v28 offset:4096                   // 0000000086B4: DBFE1000 6800001C
	ds_read_b128 a[108:111], v29 offset:4096                   // 0000000086BC: DBFE1000 6C00001D
	v_mfma_f32_32x32x64_f8f6f4 v[156:171], a[112:119], v[60:67], v[156:171]// 0000000086C4: D3AE009C 0E727970
	ds_read_b128 a[112:115], v28 offset:5120                   // 0000000086CC: DBFE1400 7000001C
	ds_read_b128 a[116:119], v29 offset:5120                   // 0000000086D4: DBFE1400 7400001D
	v_mfma_f32_32x32x64_f8f6f4 v[172:187], a[120:127], v[60:67], v[172:187]// 0000000086DC: D3AE00AC 0EB27978
	ds_read_b128 a[120:123], v28 offset:6144                   // 0000000086E4: DBFE1800 7800001C
	ds_read_b128 a[124:127], v29 offset:6144                   // 0000000086EC: DBFE1800 7C00001D
	v_mfma_f32_32x32x64_f8f6f4 v[188:203], a[128:135], v[60:67], v[188:203]// 0000000086F4: D3AE00BC 0EF27980
	ds_read_b128 a[128:131], v28 offset:7168                   // 0000000086FC: DBFE1C00 8000001C
	ds_read_b128 a[132:135], v29 offset:7168                   // 000000008704: DBFE1C00 8400001D
	ds_read_b128 a[136:139], v28 offset:8192                   // 00000000870C: DBFE2000 8800001C
	ds_read_b128 a[140:143], v29 offset:8192                   // 000000008714: DBFE2000 8C00001D
	s_branch label_75F0                                        // 00000000871C: BF8204B4

0000000000008720 <label_6320>:
	s_mov_b32 s56, 64                                          // 000000008720: BEB800C0
	s_mul_i32 s83, s56, s71                                    // 000000008724: 92534738
	s_cmp_le_i32 s83, s82                                      // 000000008728: BF055253
	s_cbranch_scc1 label_6514                                  // 00000000872C: BF850079
	s_mov_b32 s36, 0xffff0000                                  // 000000008730: BEA400FF FFFF0000
	s_mov_b32 s37, 0xffff0000                                  // 000000008738: BEA500FF FFFF0000
	v_mov_b32_e32 v36, s82                                     // 000000008740: 7E480252
	s_add_i32 s56, s82, 1                                      // 000000008744: 81388152
	v_mov_b32_e32 v37, s56                                     // 000000008748: 7E4A0238
	v_cndmask_b32_e64 v35, v36, v37, s[36:37]                  // 00000000874C: D1000023 00924B24
	s_and_b32 s56, 2, s7                                       // 000000008754: 86380782
	v_add_i32 v35, s56, v35                                    // 000000008758: D29C0023 00024638
	s_sub_u32 s56, s83, 64                                     // 000000008760: 80B8C053
	v_lshrrev_b32_e32 v204, 5, v0                              // 000000008764: 21980085
	v_mul_i32_i24_e32 v204, 4, v204                            // 000000008768: 0D999884
	v_add_u32_e32 v204, s56, v204                              // 00000000876C: 69999838
	s_and_b32 s56, s7, 1                                       // 000000008770: 86388107
	s_mov_b32 s57, 32                                          // 000000008774: BEB900A0
	s_mul_i32 s56, s57, s56                                    // 000000008778: 92383839
	v_add_u32_e32 v204, s56, v204                              // 00000000877C: 69999838
	v_add_u32_e32 v205, 1, v204                                // 000000008780: 699B9881
	v_add_u32_e32 v206, 2, v204                                // 000000008784: 699D9882
	v_add_u32_e32 v207, 3, v204                                // 000000008788: 699F9883
	v_mov_b32_e32 v37, 0xff800000                              // 00000000878C: 7E4A02FF FF800000
	v_cmp_le_i32_e64 s[36:37], v204, v35                       // 000000008794: D0C30024 000247CC
	s_nop 0                                                    // 00000000879C: BF800000
	v_cndmask_b32_e64 v44, v37, v44, s[36:37]                  // 0000000087A0: D100002C 00925925
	v_add_u32_e32 v204, 8, v204                                // 0000000087A8: 69999888
	v_cmp_le_i32_e64 s[36:37], v205, v35                       // 0000000087AC: D0C30024 000247CD
	s_nop 0                                                    // 0000000087B4: BF800000
	v_cndmask_b32_e64 v45, v37, v45, s[36:37]                  // 0000000087B8: D100002D 00925B25
	v_add_u32_e32 v205, 8, v205                                // 0000000087C0: 699B9A88
	v_cmp_le_i32_e64 s[36:37], v206, v35                       // 0000000087C4: D0C30024 000247CE
	s_nop 0                                                    // 0000000087CC: BF800000
	v_cndmask_b32_e64 v46, v37, v46, s[36:37]                  // 0000000087D0: D100002E 00925D25
	v_add_u32_e32 v206, 8, v206                                // 0000000087D8: 699D9C88
	v_cmp_le_i32_e64 s[36:37], v207, v35                       // 0000000087DC: D0C30024 000247CF
	s_nop 0                                                    // 0000000087E4: BF800000
	v_cndmask_b32_e64 v47, v37, v47, s[36:37]                  // 0000000087E8: D100002F 00925F25
	v_add_u32_e32 v207, 8, v207                                // 0000000087F0: 699F9E88
	v_cmp_le_i32_e64 s[36:37], v204, v35                       // 0000000087F4: D0C30024 000247CC
	s_nop 0                                                    // 0000000087FC: BF800000
	v_cndmask_b32_e64 v48, v37, v48, s[36:37]                  // 000000008800: D1000030 00926125
	v_add_u32_e32 v204, 8, v204                                // 000000008808: 69999888
	v_cmp_le_i32_e64 s[36:37], v205, v35                       // 00000000880C: D0C30024 000247CD
	s_nop 0                                                    // 000000008814: BF800000
	v_cndmask_b32_e64 v49, v37, v49, s[36:37]                  // 000000008818: D1000031 00926325
	v_add_u32_e32 v205, 8, v205                                // 000000008820: 699B9A88
	v_cmp_le_i32_e64 s[36:37], v206, v35                       // 000000008824: D0C30024 000247CE
	s_nop 0                                                    // 00000000882C: BF800000
	v_cndmask_b32_e64 v50, v37, v50, s[36:37]                  // 000000008830: D1000032 00926525
	v_add_u32_e32 v206, 8, v206                                // 000000008838: 699D9C88
	v_cmp_le_i32_e64 s[36:37], v207, v35                       // 00000000883C: D0C30024 000247CF
	s_nop 0                                                    // 000000008844: BF800000
	v_cndmask_b32_e64 v51, v37, v51, s[36:37]                  // 000000008848: D1000033 00926725
	v_add_u32_e32 v207, 8, v207                                // 000000008850: 699F9E88
	v_cmp_le_i32_e64 s[36:37], v204, v35                       // 000000008854: D0C30024 000247CC
	s_nop 0                                                    // 00000000885C: BF800000
	v_cndmask_b32_e64 v52, v37, v52, s[36:37]                  // 000000008860: D1000034 00926925
	v_add_u32_e32 v204, 8, v204                                // 000000008868: 69999888
	v_cmp_le_i32_e64 s[36:37], v205, v35                       // 00000000886C: D0C30024 000247CD
	s_nop 0                                                    // 000000008874: BF800000
	v_cndmask_b32_e64 v53, v37, v53, s[36:37]                  // 000000008878: D1000035 00926B25
	v_add_u32_e32 v205, 8, v205                                // 000000008880: 699B9A88
	v_cmp_le_i32_e64 s[36:37], v206, v35                       // 000000008884: D0C30024 000247CE
	s_nop 0                                                    // 00000000888C: BF800000
	v_cndmask_b32_e64 v54, v37, v54, s[36:37]                  // 000000008890: D1000036 00926D25
	v_add_u32_e32 v206, 8, v206                                // 000000008898: 699D9C88
	v_cmp_le_i32_e64 s[36:37], v207, v35                       // 00000000889C: D0C30024 000247CF
	s_nop 0                                                    // 0000000088A4: BF800000
	v_cndmask_b32_e64 v55, v37, v55, s[36:37]                  // 0000000088A8: D1000037 00926F25
	v_add_u32_e32 v207, 8, v207                                // 0000000088B0: 699F9E88
	v_cmp_le_i32_e64 s[36:37], v204, v35                       // 0000000088B4: D0C30024 000247CC
	s_nop 0                                                    // 0000000088BC: BF800000
	v_cndmask_b32_e64 v56, v37, v56, s[36:37]                  // 0000000088C0: D1000038 00927125
	v_add_u32_e32 v204, 8, v204                                // 0000000088C8: 69999888
	v_cmp_le_i32_e64 s[36:37], v205, v35                       // 0000000088CC: D0C30024 000247CD
	s_nop 0                                                    // 0000000088D4: BF800000
	v_cndmask_b32_e64 v57, v37, v57, s[36:37]                  // 0000000088D8: D1000039 00927325
	v_add_u32_e32 v205, 8, v205                                // 0000000088E0: 699B9A88
	v_cmp_le_i32_e64 s[36:37], v206, v35                       // 0000000088E4: D0C30024 000247CE
	s_nop 0                                                    // 0000000088EC: BF800000
	v_cndmask_b32_e64 v58, v37, v58, s[36:37]                  // 0000000088F0: D100003A 00927525
	v_add_u32_e32 v206, 8, v206                                // 0000000088F8: 699D9C88
	v_cmp_le_i32_e64 s[36:37], v207, v35                       // 0000000088FC: D0C30024 000247CF
	s_nop 0                                                    // 000000008904: BF800000
	v_cndmask_b32_e64 v59, v37, v59, s[36:37]                  // 000000008908: D100003B 00927725
	v_add_u32_e32 v207, 8, v207                                // 000000008910: 699F9E88

0000000000008914 <label_6514>:
	s_add_u32 s83, s84, s83                                    // 000000008914: 80535354
	s_nop 2                                                    // 000000008918: BF800002
	v_mov_b32_e32 v213, v44                                    // 00000000891C: 7FAA032C
	v_max3_f32 v213, v44, v45, v213                            // 000000008920: D1D300D5 07565B2C
	v_max3_f32 v213, v46, v47, v213                            // 000000008928: D1D300D5 07565F2E
	v_max3_f32 v213, v48, v49, v213                            // 000000008930: D1D300D5 07566330
	v_max3_f32 v213, v50, v51, v213                            // 000000008938: D1D300D5 07566732
	v_max3_f32 v213, v52, v53, v213                            // 000000008940: D1D300D5 07566B34
	v_max3_f32 v213, v54, v55, v213                            // 000000008948: D1D300D5 07566F36
	v_max3_f32 v213, v56, v57, v213                            // 000000008950: D1D300D5 07567338
	v_max3_f32 v213, v58, v59, v213                            // 000000008958: D1D300D5 0756773A
	v_mov_b32_e32 v35, v213                                    // 000000008960: 7E4603D5
	v_mov_b32_e32 v36, v213                                    // 000000008964: 7E4803D5
	s_nop 1                                                    // 000000008968: BF800001
	v_permlane32_swap_b32_e32 v35, v36                         // 00000000896C: 7E46B524
	v_max3_f32 v213, v35, v36, v213                            // 000000008970: D1D300D5 07564923
	ds_write_b32 v41, v213                                     // 000000008978: D81A0000 0000D529
	s_waitcnt lgkmcnt(0)                                       // 000000008980: BF8CC07F
	s_barrier                                                  // 000000008984: BF8A0000
	ds_read_b32 v35, v40                                       // 000000008988: D86C0000 23000028
	ds_read_b32 v36, v40 offset:256                            // 000000008990: D86C0100 24000028
	s_waitcnt lgkmcnt(0)                                       // 000000008998: BF8CC07F
	v_max3_f32 v213, v35, v36, v213                            // 00000000899C: D1D300D5 07564923
	v_mov_b32_e32 v35, 0xff800000                              // 0000000089A4: 7E4602FF FF800000
	v_cmp_eq_u32_e64 s[36:37], v35, v2                         // 0000000089AC: D0CA0024 00020523
	v_max_f32_e32 v216, v213, v2                               // 0000000089B4: 17B005D5
	v_sub_f32_e32 v21, v2, v216                                // 0000000089B8: 042BB102
	v_cndmask_b32_e64 v21, v21, 0, s[36:37]                    // 0000000089BC: D1000015 00910115
	v_mov_b32_e32 v2, v216                                     // 0000000089C4: 7E0403D8
	v_mul_f32_e32 v212, s5, v216                               // 0000000089C8: 0BA9B005
	v_mul_f32_e32 v21, s5, v21                                 // 0000000089CC: 0A2A2A05
	v_exp_f32_e32 v21, v21                                     // 0000000089D0: 7E2A4115
	v_fma_f32 v44, v44, s5, -v212                              // 0000000089D4: D1CB002C 87500B2C
	v_fma_f32 v45, v45, s5, -v212                              // 0000000089DC: D1CB002D 87500B2D
	v_fma_f32 v46, v46, s5, -v212                              // 0000000089E4: D1CB002E 87500B2E
	v_fma_f32 v47, v47, s5, -v212                              // 0000000089EC: D1CB002F 87500B2F
	v_fma_f32 v48, v48, s5, -v212                              // 0000000089F4: D1CB0030 87500B30
	v_fma_f32 v49, v49, s5, -v212                              // 0000000089FC: D1CB0031 87500B31
	v_fma_f32 v50, v50, s5, -v212                              // 000000008A04: D1CB0032 87500B32
	v_fma_f32 v51, v51, s5, -v212                              // 000000008A0C: D1CB0033 87500B33
	v_fma_f32 v52, v52, s5, -v212                              // 000000008A14: D1CB0034 87500B34
	v_fma_f32 v53, v53, s5, -v212                              // 000000008A1C: D1CB0035 87500B35
	v_fma_f32 v54, v54, s5, -v212                              // 000000008A24: D1CB0036 87500B36
	v_fma_f32 v55, v55, s5, -v212                              // 000000008A2C: D1CB0037 87500B37
	v_fma_f32 v56, v56, s5, -v212                              // 000000008A34: D1CB0038 87500B38
	v_fma_f32 v57, v57, s5, -v212                              // 000000008A3C: D1CB0039 87500B39
	v_fma_f32 v58, v58, s5, -v212                              // 000000008A44: D1CB003A 87500B3A
	v_fma_f32 v59, v59, s5, -v212                              // 000000008A4C: D1CB003B 87500B3B
	v_mov_b32_e32 v35, 0xffc00000                              // 000000008A54: 7E4602FF FFC00000
	v_exp_f32_e32 v44, v44                                     // 000000008A5C: 7E58412C
	v_exp_f32_e32 v45, v45                                     // 000000008A60: 7E5A412D
	v_exp_f32_e32 v46, v46                                     // 000000008A64: 7E5C412E
	v_exp_f32_e32 v47, v47                                     // 000000008A68: 7E5E412F
	v_exp_f32_e32 v48, v48                                     // 000000008A6C: 7E604130
	v_exp_f32_e32 v49, v49                                     // 000000008A70: 7E624131
	v_exp_f32_e32 v50, v50                                     // 000000008A74: 7E644132
	v_exp_f32_e32 v51, v51                                     // 000000008A78: 7E664133
	v_exp_f32_e32 v52, v52                                     // 000000008A7C: 7E684134
	v_exp_f32_e32 v53, v53                                     // 000000008A80: 7E6A4135
	v_exp_f32_e32 v54, v54                                     // 000000008A84: 7E6C4136
	v_exp_f32_e32 v55, v55                                     // 000000008A88: 7E6E4137
	v_exp_f32_e32 v56, v56                                     // 000000008A8C: 7E704138
	v_exp_f32_e32 v57, v57                                     // 000000008A90: 7E724139
	v_exp_f32_e32 v58, v58                                     // 000000008A94: 7E74413A
	v_exp_f32_e32 v59, v59                                     // 000000008A98: 7E76413B
	v_mul_f32_e32 v4, v21, v4                                  // 000000008A9C: 0A080915
	v_mov_b32_e32 v35, v44                                     // 000000008AA0: 7E46032C
	v_add_f32_e32 v35, v45, v35                                // 000000008AA4: 0246472D
	v_add_f32_e32 v35, v46, v35                                // 000000008AA8: 0246472E
	v_add_f32_e32 v35, v47, v35                                // 000000008AAC: 0246472F
	v_add_f32_e32 v35, v48, v35                                // 000000008AB0: 02464730
	v_add_f32_e32 v35, v49, v35                                // 000000008AB4: 02464731
	v_add_f32_e32 v35, v50, v35                                // 000000008AB8: 02464732
	v_add_f32_e32 v35, v51, v35                                // 000000008ABC: 02464733
	v_add_f32_e32 v35, v52, v35                                // 000000008AC0: 02464734
	v_add_f32_e32 v35, v53, v35                                // 000000008AC4: 02464735
	v_add_f32_e32 v35, v54, v35                                // 000000008AC8: 02464736
	v_add_f32_e32 v35, v55, v35                                // 000000008ACC: 02464737
	v_add_f32_e32 v35, v56, v35                                // 000000008AD0: 02464738
	v_add_f32_e32 v35, v57, v35                                // 000000008AD4: 02464739
	v_add_f32_e32 v35, v58, v35                                // 000000008AD8: 0246473A
	v_add_f32_e32 v35, v59, v35                                // 000000008ADC: 0246473B
	v_add_f32_e32 v4, v35, v4                                  // 000000008AE0: 02080923
	v_cvt_pk_fp8_f32 v44, v44, v45                             // 000000008AE4: D2A2002C 00025B2C
	v_cvt_pk_fp8_f32 v44, v46, v47 op_sel:[0,0,1]              // 000000008AEC: D2A2402C 00025F2E
	v_cvt_pk_fp8_f32 v45, v48, v49                             // 000000008AF4: D2A2002D 00026330
	v_cvt_pk_fp8_f32 v45, v50, v51 op_sel:[0,0,1]              // 000000008AFC: D2A2402D 00026732
	v_cvt_pk_fp8_f32 v46, v52, v53                             // 000000008B04: D2A2002E 00026B34
	v_cvt_pk_fp8_f32 v46, v54, v55 op_sel:[0,0,1]              // 000000008B0C: D2A2402E 00026F36
	v_cvt_pk_fp8_f32 v47, v56, v57                             // 000000008B14: D2A2002F 00027338
	v_cvt_pk_fp8_f32 v47, v58, v59 op_sel:[0,0,1]              // 000000008B1C: D2A2402F 0002773A
	ds_write_b128 v43, v[44:47] offset:1024                    // 000000008B24: D9BE0400 00002C2B
	s_waitcnt lgkmcnt(0)                                       // 000000008B2C: BF8CC07F
	s_barrier                                                  // 000000008B30: BF8A0000
	ds_read_b128 v[44:47], v42 offset:1024                     // 000000008B34: D9FE0400 2C00002A
	ds_read_b128 v[48:51], v42 offset:2048                     // 000000008B3C: D9FE0800 3000002A
	s_waitcnt lgkmcnt(0)                                       // 000000008B44: BF8CC07F
	v_permlane32_swap_b32_e32 v44, v46                         // 000000008B48: 7E58B52E
	v_permlane32_swap_b32_e32 v45, v47                         // 000000008B4C: 7E5AB52F
	v_swap_b32 v45, v46                                        // 000000008B50: 7E5AA32E
	v_permlane32_swap_b32_e32 v48, v50                         // 000000008B54: 7E60B532
	v_permlane32_swap_b32_e32 v49, v51                         // 000000008B58: 7E62B533
	v_swap_b32 v49, v50                                        // 000000008B5C: 7E62A332
	ds_read_b64_tr_b8 a[72:73], v13                            // 000000008B60: DBC40000 4800000D
	ds_read_b64_tr_b8 a[74:75], v14                            // 000000008B68: DBC40000 4A00000E
	ds_read_b64_tr_b8 a[76:77], v13 offset:18432               // 000000008B70: DBC44800 4C00000D
	ds_read_b64_tr_b8 a[78:79], v14 offset:18432               // 000000008B78: DBC44800 4E00000E
	ds_read_b64_tr_b8 a[80:81], v15                            // 000000008B80: DBC40000 5000000F
	ds_read_b64_tr_b8 a[82:83], v16                            // 000000008B88: DBC40000 52000010
	ds_read_b64_tr_b8 a[84:85], v15 offset:18432               // 000000008B90: DBC44800 5400000F
	ds_read_b64_tr_b8 a[86:87], v16 offset:18432               // 000000008B98: DBC44800 56000010
	ds_read_b64_tr_b8 a[88:89], v13 offset:1024                // 000000008BA0: DBC40400 5800000D
	ds_read_b64_tr_b8 a[90:91], v14 offset:1024                // 000000008BA8: DBC40400 5A00000E
	ds_read_b64_tr_b8 a[92:93], v13 offset:19456               // 000000008BB0: DBC44C00 5C00000D
	ds_read_b64_tr_b8 a[94:95], v14 offset:19456               // 000000008BB8: DBC44C00 5E00000E
	ds_read_b64_tr_b8 a[96:97], v15 offset:1024                // 000000008BC0: DBC40400 6000000F
	ds_read_b64_tr_b8 a[98:99], v16 offset:1024                // 000000008BC8: DBC40400 62000010
	ds_read_b64_tr_b8 a[100:101], v15 offset:19456             // 000000008BD0: DBC44C00 6400000F
	ds_read_b64_tr_b8 a[102:103], v16 offset:19456             // 000000008BD8: DBC44C00 66000010
	ds_read_b64_tr_b8 a[104:105], v13 offset:2048              // 000000008BE0: DBC40800 6800000D
	ds_read_b64_tr_b8 a[106:107], v14 offset:2048              // 000000008BE8: DBC40800 6A00000E
	ds_read_b64_tr_b8 a[108:109], v13 offset:20480             // 000000008BF0: DBC45000 6C00000D
	ds_read_b64_tr_b8 a[110:111], v14 offset:20480             // 000000008BF8: DBC45000 6E00000E
	ds_read_b64_tr_b8 a[112:113], v15 offset:2048              // 000000008C00: DBC40800 7000000F
	ds_read_b64_tr_b8 a[114:115], v16 offset:2048              // 000000008C08: DBC40800 72000010
	ds_read_b64_tr_b8 a[116:117], v15 offset:20480             // 000000008C10: DBC45000 7400000F
	ds_read_b64_tr_b8 a[118:119], v16 offset:20480             // 000000008C18: DBC45000 76000010
	ds_read_b64_tr_b8 a[120:121], v13 offset:3072              // 000000008C20: DBC40C00 7800000D
	ds_read_b64_tr_b8 a[122:123], v14 offset:3072              // 000000008C28: DBC40C00 7A00000E
	ds_read_b64_tr_b8 a[124:125], v13 offset:21504             // 000000008C30: DBC45400 7C00000D
	ds_read_b64_tr_b8 a[126:127], v14 offset:21504             // 000000008C38: DBC45400 7E00000E
	ds_read_b64_tr_b8 a[128:129], v15 offset:3072              // 000000008C40: DBC40C00 8000000F
	ds_read_b64_tr_b8 a[130:131], v16 offset:3072              // 000000008C48: DBC40C00 82000010
	ds_read_b64_tr_b8 a[132:133], v15 offset:21504             // 000000008C50: DBC45400 8400000F
	ds_read_b64_tr_b8 a[134:135], v16 offset:21504             // 000000008C58: DBC45400 86000010
	s_waitcnt lgkmcnt(4)                                       // 000000008C60: BF8CC47F
	v_mfma_f32_32x32x64_f8f6f4 v[76:91], a[72:79], v[60:67], v[76:91]// 000000008C64: D3AE004C 0D327948
	ds_read_b64_tr_b8 a[72:73], v17                            // 000000008C6C: DBC40000 48000011
	ds_read_b64_tr_b8 a[74:75], v18                            // 000000008C74: DBC40000 4A000012
	ds_read_b64_tr_b8 a[76:77], v17 offset:18432               // 000000008C7C: DBC44800 4C000011
	ds_read_b64_tr_b8 a[78:79], v18 offset:18432               // 000000008C84: DBC44800 4E000012
	v_mfma_f32_32x32x64_f8f6f4 v[92:107], a[80:87], v[60:67], v[92:107]// 000000008C8C: D3AE005C 0D727950
	ds_read_b64_tr_b8 a[80:81], v19                            // 000000008C94: DBC40000 50000013
	ds_read_b64_tr_b8 a[82:83], v20                            // 000000008C9C: DBC40000 52000014
	ds_read_b64_tr_b8 a[84:85], v19 offset:18432               // 000000008CA4: DBC44800 54000013
	ds_read_b64_tr_b8 a[86:87], v20 offset:18432               // 000000008CAC: DBC44800 56000014
	v_mfma_f32_32x32x64_f8f6f4 v[108:123], a[88:95], v[60:67], v[108:123]// 000000008CB4: D3AE006C 0DB27958
	ds_read_b64_tr_b8 a[88:89], v17 offset:1024                // 000000008CBC: DBC40400 58000011
	ds_read_b64_tr_b8 a[90:91], v18 offset:1024                // 000000008CC4: DBC40400 5A000012
	ds_read_b64_tr_b8 a[92:93], v17 offset:19456               // 000000008CCC: DBC44C00 5C000011
	ds_read_b64_tr_b8 a[94:95], v18 offset:19456               // 000000008CD4: DBC44C00 5E000012
	v_mfma_f32_32x32x64_f8f6f4 v[124:139], a[96:103], v[60:67], v[124:139]// 000000008CDC: D3AE007C 0DF27960
	ds_read_b64_tr_b8 a[96:97], v19 offset:1024                // 000000008CE4: DBC40400 60000013
	ds_read_b64_tr_b8 a[98:99], v20 offset:1024                // 000000008CEC: DBC40400 62000014
	ds_read_b64_tr_b8 a[100:101], v19 offset:19456             // 000000008CF4: DBC44C00 64000013
	ds_read_b64_tr_b8 a[102:103], v20 offset:19456             // 000000008CFC: DBC44C00 66000014
	v_mfma_f32_32x32x64_f8f6f4 v[140:155], a[104:111], v[60:67], v[140:155]// 000000008D04: D3AE008C 0E327968
	ds_read_b64_tr_b8 a[104:105], v17 offset:2048              // 000000008D0C: DBC40800 68000011
	ds_read_b64_tr_b8 a[106:107], v18 offset:2048              // 000000008D14: DBC40800 6A000012
	ds_read_b64_tr_b8 a[108:109], v17 offset:20480             // 000000008D1C: DBC45000 6C000011
	ds_read_b64_tr_b8 a[110:111], v18 offset:20480             // 000000008D24: DBC45000 6E000012
	v_mfma_f32_32x32x64_f8f6f4 v[156:171], a[112:119], v[60:67], v[156:171]// 000000008D2C: D3AE009C 0E727970
	ds_read_b64_tr_b8 a[112:113], v19 offset:2048              // 000000008D34: DBC40800 70000013
	ds_read_b64_tr_b8 a[114:115], v20 offset:2048              // 000000008D3C: DBC40800 72000014
	ds_read_b64_tr_b8 a[116:117], v19 offset:20480             // 000000008D44: DBC45000 74000013
	ds_read_b64_tr_b8 a[118:119], v20 offset:20480             // 000000008D4C: DBC45000 76000014
	v_mfma_f32_32x32x64_f8f6f4 v[172:187], a[120:127], v[60:67], v[172:187]// 000000008D54: D3AE00AC 0EB27978
	ds_read_b64_tr_b8 a[120:121], v17 offset:3072              // 000000008D5C: DBC40C00 78000011
	ds_read_b64_tr_b8 a[122:123], v18 offset:3072              // 000000008D64: DBC40C00 7A000012
	ds_read_b64_tr_b8 a[124:125], v17 offset:21504             // 000000008D6C: DBC45400 7C000011
	ds_read_b64_tr_b8 a[126:127], v18 offset:21504             // 000000008D74: DBC45400 7E000012
	v_mfma_f32_32x32x64_f8f6f4 v[188:203], a[128:135], v[60:67], v[188:203]// 000000008D7C: D3AE00BC 0EF27980
	ds_read_b64_tr_b8 a[128:129], v19 offset:3072              // 000000008D84: DBC40C00 80000013
	ds_read_b64_tr_b8 a[130:131], v20 offset:3072              // 000000008D8C: DBC40C00 82000014
	ds_read_b64_tr_b8 a[132:133], v19 offset:21504             // 000000008D94: DBC45400 84000013
	ds_read_b64_tr_b8 a[134:135], v20 offset:21504             // 000000008D9C: DBC45400 86000014
	v_mov_b32_e32 v36, v21                                     // 000000008DA4: 7E480315
	v_mov_b32_e32 v37, v21                                     // 000000008DA8: 7E4A0315
	v_pk_mul_f32 v[76:77], v[36:37], v[76:77]                  // 000000008DAC: D3B1404C 18029924
	v_pk_mul_f32 v[78:79], v[36:37], v[78:79]                  // 000000008DB4: D3B1404E 18029D24
	v_pk_mul_f32 v[80:81], v[36:37], v[80:81]                  // 000000008DBC: D3B14050 1802A124
	v_pk_mul_f32 v[82:83], v[36:37], v[82:83]                  // 000000008DC4: D3B14052 1802A524
	v_pk_mul_f32 v[84:85], v[36:37], v[84:85]                  // 000000008DCC: D3B14054 1802A924
	v_pk_mul_f32 v[86:87], v[36:37], v[86:87]                  // 000000008DD4: D3B14056 1802AD24
	v_pk_mul_f32 v[88:89], v[36:37], v[88:89]                  // 000000008DDC: D3B14058 1802B124
	v_pk_mul_f32 v[90:91], v[36:37], v[90:91]                  // 000000008DE4: D3B1405A 1802B524
	v_pk_mul_f32 v[92:93], v[36:37], v[92:93]                  // 000000008DEC: D3B1405C 1802B924
	v_pk_mul_f32 v[94:95], v[36:37], v[94:95]                  // 000000008DF4: D3B1405E 1802BD24
	v_pk_mul_f32 v[96:97], v[36:37], v[96:97]                  // 000000008DFC: D3B14060 1802C124
	v_pk_mul_f32 v[98:99], v[36:37], v[98:99]                  // 000000008E04: D3B14062 1802C524
	v_pk_mul_f32 v[100:101], v[36:37], v[100:101]              // 000000008E0C: D3B14064 1802C924
	v_pk_mul_f32 v[102:103], v[36:37], v[102:103]              // 000000008E14: D3B14066 1802CD24
	v_pk_mul_f32 v[104:105], v[36:37], v[104:105]              // 000000008E1C: D3B14068 1802D124
	v_pk_mul_f32 v[106:107], v[36:37], v[106:107]              // 000000008E24: D3B1406A 1802D524
	v_pk_mul_f32 v[108:109], v[36:37], v[108:109]              // 000000008E2C: D3B1406C 1802D924
	v_pk_mul_f32 v[110:111], v[36:37], v[110:111]              // 000000008E34: D3B1406E 1802DD24
	v_pk_mul_f32 v[112:113], v[36:37], v[112:113]              // 000000008E3C: D3B14070 1802E124
	v_pk_mul_f32 v[114:115], v[36:37], v[114:115]              // 000000008E44: D3B14072 1802E524
	v_pk_mul_f32 v[116:117], v[36:37], v[116:117]              // 000000008E4C: D3B14074 1802E924
	v_pk_mul_f32 v[118:119], v[36:37], v[118:119]              // 000000008E54: D3B14076 1802ED24
	v_pk_mul_f32 v[120:121], v[36:37], v[120:121]              // 000000008E5C: D3B14078 1802F124
	v_pk_mul_f32 v[122:123], v[36:37], v[122:123]              // 000000008E64: D3B1407A 1802F524
	v_pk_mul_f32 v[124:125], v[36:37], v[124:125]              // 000000008E6C: D3B1407C 1802F924
	v_pk_mul_f32 v[126:127], v[36:37], v[126:127]              // 000000008E74: D3B1407E 1802FD24
	v_pk_mul_f32 v[128:129], v[36:37], v[128:129]              // 000000008E7C: D3B14080 18030124
	v_pk_mul_f32 v[130:131], v[36:37], v[130:131]              // 000000008E84: D3B14082 18030524
	v_pk_mul_f32 v[132:133], v[36:37], v[132:133]              // 000000008E8C: D3B14084 18030924
	v_pk_mul_f32 v[134:135], v[36:37], v[134:135]              // 000000008E94: D3B14086 18030D24
	v_pk_mul_f32 v[136:137], v[36:37], v[136:137]              // 000000008E9C: D3B14088 18031124
	v_pk_mul_f32 v[138:139], v[36:37], v[138:139]              // 000000008EA4: D3B1408A 18031524
	v_pk_mul_f32 v[140:141], v[36:37], v[140:141]              // 000000008EAC: D3B1408C 18031924
	v_pk_mul_f32 v[142:143], v[36:37], v[142:143]              // 000000008EB4: D3B1408E 18031D24
	v_pk_mul_f32 v[144:145], v[36:37], v[144:145]              // 000000008EBC: D3B14090 18032124
	v_pk_mul_f32 v[146:147], v[36:37], v[146:147]              // 000000008EC4: D3B14092 18032524
	v_pk_mul_f32 v[148:149], v[36:37], v[148:149]              // 000000008ECC: D3B14094 18032924
	v_pk_mul_f32 v[150:151], v[36:37], v[150:151]              // 000000008ED4: D3B14096 18032D24
	v_pk_mul_f32 v[152:153], v[36:37], v[152:153]              // 000000008EDC: D3B14098 18033124
	v_pk_mul_f32 v[154:155], v[36:37], v[154:155]              // 000000008EE4: D3B1409A 18033524
	v_pk_mul_f32 v[156:157], v[36:37], v[156:157]              // 000000008EEC: D3B1409C 18033924
	v_pk_mul_f32 v[158:159], v[36:37], v[158:159]              // 000000008EF4: D3B1409E 18033D24
	v_pk_mul_f32 v[160:161], v[36:37], v[160:161]              // 000000008EFC: D3B140A0 18034124
	v_pk_mul_f32 v[162:163], v[36:37], v[162:163]              // 000000008F04: D3B140A2 18034524
	v_pk_mul_f32 v[164:165], v[36:37], v[164:165]              // 000000008F0C: D3B140A4 18034924
	v_pk_mul_f32 v[166:167], v[36:37], v[166:167]              // 000000008F14: D3B140A6 18034D24
	v_pk_mul_f32 v[168:169], v[36:37], v[168:169]              // 000000008F1C: D3B140A8 18035124
	v_pk_mul_f32 v[170:171], v[36:37], v[170:171]              // 000000008F24: D3B140AA 18035524
	v_pk_mul_f32 v[172:173], v[36:37], v[172:173]              // 000000008F2C: D3B140AC 18035924
	v_pk_mul_f32 v[174:175], v[36:37], v[174:175]              // 000000008F34: D3B140AE 18035D24
	v_pk_mul_f32 v[176:177], v[36:37], v[176:177]              // 000000008F3C: D3B140B0 18036124
	v_pk_mul_f32 v[178:179], v[36:37], v[178:179]              // 000000008F44: D3B140B2 18036524
	v_pk_mul_f32 v[180:181], v[36:37], v[180:181]              // 000000008F4C: D3B140B4 18036924
	v_pk_mul_f32 v[182:183], v[36:37], v[182:183]              // 000000008F54: D3B140B6 18036D24
	v_pk_mul_f32 v[184:185], v[36:37], v[184:185]              // 000000008F5C: D3B140B8 18037124
	v_pk_mul_f32 v[186:187], v[36:37], v[186:187]              // 000000008F64: D3B140BA 18037524
	v_pk_mul_f32 v[188:189], v[36:37], v[188:189]              // 000000008F6C: D3B140BC 18037924
	v_pk_mul_f32 v[190:191], v[36:37], v[190:191]              // 000000008F74: D3B140BE 18037D24
	v_pk_mul_f32 v[192:193], v[36:37], v[192:193]              // 000000008F7C: D3B140C0 18038124
	v_pk_mul_f32 v[194:195], v[36:37], v[194:195]              // 000000008F84: D3B140C2 18038524
	v_pk_mul_f32 v[196:197], v[36:37], v[196:197]              // 000000008F8C: D3B140C4 18038924
	v_pk_mul_f32 v[198:199], v[36:37], v[198:199]              // 000000008F94: D3B140C6 18038D24
	v_pk_mul_f32 v[200:201], v[36:37], v[200:201]              // 000000008F9C: D3B140C8 18039124
	v_pk_mul_f32 v[202:203], v[36:37], v[202:203]              // 000000008FA4: D3B140CA 18039524
	s_waitcnt vmcnt(0)                                         // 000000008FAC: BF8C0F70
	s_barrier                                                  // 000000008FB0: BF8A0000
	v_mfma_f32_32x32x64_f8f6f4 v[76:91], a[72:79], v[44:51], v[76:91]// 000000008FB4: D3AE004C 0D325948
	ds_read_b128 a[72:75], v22                                 // 000000008FBC: DBFE0000 48000016
	ds_read_b128 a[76:79], v23                                 // 000000008FC4: DBFE0000 4C000017
	v_mfma_f32_32x32x64_f8f6f4 v[92:107], a[80:87], v[44:51], v[92:107]// 000000008FCC: D3AE005C 0D725950
	ds_read_b128 a[80:83], v22 offset:1024                     // 000000008FD4: DBFE0400 50000016
	ds_read_b128 a[84:87], v23 offset:1024                     // 000000008FDC: DBFE0400 54000017
	v_mfma_f32_32x32x64_f8f6f4 v[108:123], a[88:95], v[44:51], v[108:123]// 000000008FE4: D3AE006C 0DB25958
	ds_read_b128 a[88:91], v22 offset:2048                     // 000000008FEC: DBFE0800 58000016
	ds_read_b128 a[92:95], v23 offset:2048                     // 000000008FF4: DBFE0800 5C000017
	v_mfma_f32_32x32x64_f8f6f4 v[124:139], a[96:103], v[44:51], v[124:139]// 000000008FFC: D3AE007C 0DF25960
	ds_read_b128 a[96:99], v22 offset:3072                     // 000000009004: DBFE0C00 60000016
	ds_read_b128 a[100:103], v23 offset:3072                   // 00000000900C: DBFE0C00 64000017
	v_mfma_f32_32x32x64_f8f6f4 v[140:155], a[104:111], v[44:51], v[140:155]// 000000009014: D3AE008C 0E325968
	ds_read_b128 a[104:107], v22 offset:4096                   // 00000000901C: DBFE1000 68000016
	ds_read_b128 a[108:111], v23 offset:4096                   // 000000009024: DBFE1000 6C000017
	v_mfma_f32_32x32x64_f8f6f4 v[156:171], a[112:119], v[44:51], v[156:171]// 00000000902C: D3AE009C 0E725970
	ds_read_b128 a[112:115], v22 offset:5120                   // 000000009034: DBFE1400 70000016
	ds_read_b128 a[116:119], v23 offset:5120                   // 00000000903C: DBFE1400 74000017
	v_mfma_f32_32x32x64_f8f6f4 v[172:187], a[120:127], v[44:51], v[172:187]// 000000009044: D3AE00AC 0EB25978
	ds_read_b128 a[120:123], v22 offset:6144                   // 00000000904C: DBFE1800 78000016
	ds_read_b128 a[124:127], v23 offset:6144                   // 000000009054: DBFE1800 7C000017
	v_mfma_f32_32x32x64_f8f6f4 v[188:203], a[128:135], v[44:51], v[188:203]// 00000000905C: D3AE00BC 0EF25980
	ds_read_b128 a[128:131], v22 offset:7168                   // 000000009064: DBFE1C00 80000016
	ds_read_b128 a[132:135], v23 offset:7168                   // 00000000906C: DBFE1C00 84000017
	ds_read_b128 a[136:139], v22 offset:8192                   // 000000009074: DBFE2000 88000016
	ds_read_b128 a[140:143], v23 offset:8192                   // 00000000907C: DBFE2000 8C000017
	s_branch label_75F0                                        // 000000009084: BF82025A

0000000000009088 <label_6C88>:
	s_mov_b32 s56, 64                                          // 000000009088: BEB800C0
	s_mul_i32 s83, s56, s71                                    // 00000000908C: 92534738
	s_cmp_le_i32 s83, s82                                      // 000000009090: BF055253
	s_cbranch_scc1 label_6E7C                                  // 000000009094: BF850079
	s_mov_b32 s36, 0xffff0000                                  // 000000009098: BEA400FF FFFF0000
	s_mov_b32 s37, 0xffff0000                                  // 0000000090A0: BEA500FF FFFF0000
	v_mov_b32_e32 v36, s82                                     // 0000000090A8: 7E480252
	s_add_i32 s56, s82, 1                                      // 0000000090AC: 81388152
	v_mov_b32_e32 v37, s56                                     // 0000000090B0: 7E4A0238
	v_cndmask_b32_e64 v35, v36, v37, s[36:37]                  // 0000000090B4: D1000023 00924B24
	s_and_b32 s56, 2, s7                                       // 0000000090BC: 86380782
	v_add_i32 v35, s56, v35                                    // 0000000090C0: D29C0023 00024638
	s_sub_u32 s56, s83, 64                                     // 0000000090C8: 80B8C053
	v_lshrrev_b32_e32 v204, 5, v0                              // 0000000090CC: 21980085
	v_mul_i32_i24_e32 v204, 4, v204                            // 0000000090D0: 0D999884
	v_add_u32_e32 v204, s56, v204                              // 0000000090D4: 69999838
	s_and_b32 s56, s7, 1                                       // 0000000090D8: 86388107
	s_mov_b32 s57, 32                                          // 0000000090DC: BEB900A0
	s_mul_i32 s56, s57, s56                                    // 0000000090E0: 92383839
	v_add_u32_e32 v204, s56, v204                              // 0000000090E4: 69999838
	v_add_u32_e32 v205, 1, v204                                // 0000000090E8: 699B9881
	v_add_u32_e32 v206, 2, v204                                // 0000000090EC: 699D9882
	v_add_u32_e32 v207, 3, v204                                // 0000000090F0: 699F9883
	v_mov_b32_e32 v37, 0xff800000                              // 0000000090F4: 7E4A02FF FF800000
	v_cmp_le_i32_e64 s[36:37], v204, v35                       // 0000000090FC: D0C30024 000247CC
	s_nop 0                                                    // 000000009104: BF800000
	v_cndmask_b32_e64 v60, v37, v60, s[36:37]                  // 000000009108: D100003C 00927925
	v_add_u32_e32 v204, 8, v204                                // 000000009110: 69999888
	v_cmp_le_i32_e64 s[36:37], v205, v35                       // 000000009114: D0C30024 000247CD
	s_nop 0                                                    // 00000000911C: BF800000
	v_cndmask_b32_e64 v61, v37, v61, s[36:37]                  // 000000009120: D100003D 00927B25
	v_add_u32_e32 v205, 8, v205                                // 000000009128: 699B9A88
	v_cmp_le_i32_e64 s[36:37], v206, v35                       // 00000000912C: D0C30024 000247CE
	s_nop 0                                                    // 000000009134: BF800000
	v_cndmask_b32_e64 v62, v37, v62, s[36:37]                  // 000000009138: D100003E 00927D25
	v_add_u32_e32 v206, 8, v206                                // 000000009140: 699D9C88
	v_cmp_le_i32_e64 s[36:37], v207, v35                       // 000000009144: D0C30024 000247CF
	s_nop 0                                                    // 00000000914C: BF800000
	v_cndmask_b32_e64 v63, v37, v63, s[36:37]                  // 000000009150: D100003F 00927F25
	v_add_u32_e32 v207, 8, v207                                // 000000009158: 699F9E88
	v_cmp_le_i32_e64 s[36:37], v204, v35                       // 00000000915C: D0C30024 000247CC
	s_nop 0                                                    // 000000009164: BF800000
	v_cndmask_b32_e64 v64, v37, v64, s[36:37]                  // 000000009168: D1000040 00928125
	v_add_u32_e32 v204, 8, v204                                // 000000009170: 69999888
	v_cmp_le_i32_e64 s[36:37], v205, v35                       // 000000009174: D0C30024 000247CD
	s_nop 0                                                    // 00000000917C: BF800000
	v_cndmask_b32_e64 v65, v37, v65, s[36:37]                  // 000000009180: D1000041 00928325
	v_add_u32_e32 v205, 8, v205                                // 000000009188: 699B9A88
	v_cmp_le_i32_e64 s[36:37], v206, v35                       // 00000000918C: D0C30024 000247CE
	s_nop 0                                                    // 000000009194: BF800000
	v_cndmask_b32_e64 v66, v37, v66, s[36:37]                  // 000000009198: D1000042 00928525
	v_add_u32_e32 v206, 8, v206                                // 0000000091A0: 699D9C88
	v_cmp_le_i32_e64 s[36:37], v207, v35                       // 0000000091A4: D0C30024 000247CF
	s_nop 0                                                    // 0000000091AC: BF800000
	v_cndmask_b32_e64 v67, v37, v67, s[36:37]                  // 0000000091B0: D1000043 00928725
	v_add_u32_e32 v207, 8, v207                                // 0000000091B8: 699F9E88
	v_cmp_le_i32_e64 s[36:37], v204, v35                       // 0000000091BC: D0C30024 000247CC
	s_nop 0                                                    // 0000000091C4: BF800000
	v_cndmask_b32_e64 v68, v37, v68, s[36:37]                  // 0000000091C8: D1000044 00928925
	v_add_u32_e32 v204, 8, v204                                // 0000000091D0: 69999888
	v_cmp_le_i32_e64 s[36:37], v205, v35                       // 0000000091D4: D0C30024 000247CD
	s_nop 0                                                    // 0000000091DC: BF800000
	v_cndmask_b32_e64 v69, v37, v69, s[36:37]                  // 0000000091E0: D1000045 00928B25
	v_add_u32_e32 v205, 8, v205                                // 0000000091E8: 699B9A88
	v_cmp_le_i32_e64 s[36:37], v206, v35                       // 0000000091EC: D0C30024 000247CE
	s_nop 0                                                    // 0000000091F4: BF800000
	v_cndmask_b32_e64 v70, v37, v70, s[36:37]                  // 0000000091F8: D1000046 00928D25
	v_add_u32_e32 v206, 8, v206                                // 000000009200: 699D9C88
	v_cmp_le_i32_e64 s[36:37], v207, v35                       // 000000009204: D0C30024 000247CF
	s_nop 0                                                    // 00000000920C: BF800000
	v_cndmask_b32_e64 v71, v37, v71, s[36:37]                  // 000000009210: D1000047 00928F25
	v_add_u32_e32 v207, 8, v207                                // 000000009218: 699F9E88
	v_cmp_le_i32_e64 s[36:37], v204, v35                       // 00000000921C: D0C30024 000247CC
	s_nop 0                                                    // 000000009224: BF800000
	v_cndmask_b32_e64 v72, v37, v72, s[36:37]                  // 000000009228: D1000048 00929125
	v_add_u32_e32 v204, 8, v204                                // 000000009230: 69999888
	v_cmp_le_i32_e64 s[36:37], v205, v35                       // 000000009234: D0C30024 000247CD
	s_nop 0                                                    // 00000000923C: BF800000
	v_cndmask_b32_e64 v73, v37, v73, s[36:37]                  // 000000009240: D1000049 00929325
	v_add_u32_e32 v205, 8, v205                                // 000000009248: 699B9A88
	v_cmp_le_i32_e64 s[36:37], v206, v35                       // 00000000924C: D0C30024 000247CE
	s_nop 0                                                    // 000000009254: BF800000
	v_cndmask_b32_e64 v74, v37, v74, s[36:37]                  // 000000009258: D100004A 00929525
	v_add_u32_e32 v206, 8, v206                                // 000000009260: 699D9C88
	v_cmp_le_i32_e64 s[36:37], v207, v35                       // 000000009264: D0C30024 000247CF
	s_nop 0                                                    // 00000000926C: BF800000
	v_cndmask_b32_e64 v75, v37, v75, s[36:37]                  // 000000009270: D100004B 00929725
	v_add_u32_e32 v207, 8, v207                                // 000000009278: 699F9E88

000000000000927c <label_6E7C>:
	s_add_u32 s83, s84, s83                                    // 00000000927C: 80535354
	s_nop 2                                                    // 000000009280: BF800002
	v_mov_b32_e32 v213, v60                                    // 000000009284: 7FAA033C
	v_max3_f32 v213, v60, v61, v213                            // 000000009288: D1D300D5 07567B3C
	v_max3_f32 v213, v62, v63, v213                            // 000000009290: D1D300D5 07567F3E
	v_max3_f32 v213, v64, v65, v213                            // 000000009298: D1D300D5 07568340
	v_max3_f32 v213, v66, v67, v213                            // 0000000092A0: D1D300D5 07568742
	v_max3_f32 v213, v68, v69, v213                            // 0000000092A8: D1D300D5 07568B44
	v_max3_f32 v213, v70, v71, v213                            // 0000000092B0: D1D300D5 07568F46
	v_max3_f32 v213, v72, v73, v213                            // 0000000092B8: D1D300D5 07569348
	v_max3_f32 v213, v74, v75, v213                            // 0000000092C0: D1D300D5 0756974A
	v_mov_b32_e32 v35, v213                                    // 0000000092C8: 7E4603D5
	v_mov_b32_e32 v36, v213                                    // 0000000092CC: 7E4803D5
	s_nop 1                                                    // 0000000092D0: BF800001
	v_permlane32_swap_b32_e32 v35, v36                         // 0000000092D4: 7E46B524
	v_max3_f32 v213, v35, v36, v213                            // 0000000092D8: D1D300D5 07564923
	ds_write_b32 v41, v213                                     // 0000000092E0: D81A0000 0000D529
	s_waitcnt lgkmcnt(0)                                       // 0000000092E8: BF8CC07F
	s_barrier                                                  // 0000000092EC: BF8A0000
	ds_read_b32 v35, v40                                       // 0000000092F0: D86C0000 23000028
	ds_read_b32 v36, v40 offset:256                            // 0000000092F8: D86C0100 24000028
	s_waitcnt lgkmcnt(0)                                       // 000000009300: BF8CC07F
	v_max3_f32 v213, v35, v36, v213                            // 000000009304: D1D300D5 07564923
	v_mov_b32_e32 v35, 0xff800000                              // 00000000930C: 7E4602FF FF800000
	v_cmp_eq_u32_e64 s[36:37], v35, v2                         // 000000009314: D0CA0024 00020523
	v_max_f32_e32 v216, v213, v2                               // 00000000931C: 17B005D5
	v_sub_f32_e32 v21, v2, v216                                // 000000009320: 042BB102
	v_cndmask_b32_e64 v21, v21, 0, s[36:37]                    // 000000009324: D1000015 00910115
	v_mov_b32_e32 v2, v216                                     // 00000000932C: 7E0403D8
	v_mul_f32_e32 v212, s5, v216                               // 000000009330: 0BA9B005
	v_mul_f32_e32 v21, s5, v21                                 // 000000009334: 0A2A2A05
	v_exp_f32_e32 v21, v21                                     // 000000009338: 7E2A4115
	v_fma_f32 v60, v60, s5, -v212                              // 00000000933C: D1CB003C 87500B3C
	v_fma_f32 v61, v61, s5, -v212                              // 000000009344: D1CB003D 87500B3D
	v_fma_f32 v62, v62, s5, -v212                              // 00000000934C: D1CB003E 87500B3E
	v_fma_f32 v63, v63, s5, -v212                              // 000000009354: D1CB003F 87500B3F
	v_fma_f32 v64, v64, s5, -v212                              // 00000000935C: D1CB0040 87500B40
	v_fma_f32 v65, v65, s5, -v212                              // 000000009364: D1CB0041 87500B41
	v_fma_f32 v66, v66, s5, -v212                              // 00000000936C: D1CB0042 87500B42
	v_fma_f32 v67, v67, s5, -v212                              // 000000009374: D1CB0043 87500B43
	v_fma_f32 v68, v68, s5, -v212                              // 00000000937C: D1CB0044 87500B44
	v_fma_f32 v69, v69, s5, -v212                              // 000000009384: D1CB0045 87500B45
	v_fma_f32 v70, v70, s5, -v212                              // 00000000938C: D1CB0046 87500B46
	v_fma_f32 v71, v71, s5, -v212                              // 000000009394: D1CB0047 87500B47
	v_fma_f32 v72, v72, s5, -v212                              // 00000000939C: D1CB0048 87500B48
	v_fma_f32 v73, v73, s5, -v212                              // 0000000093A4: D1CB0049 87500B49
	v_fma_f32 v74, v74, s5, -v212                              // 0000000093AC: D1CB004A 87500B4A
	v_fma_f32 v75, v75, s5, -v212                              // 0000000093B4: D1CB004B 87500B4B
	v_mov_b32_e32 v35, 0xffc00000                              // 0000000093BC: 7E4602FF FFC00000
	v_exp_f32_e32 v60, v60                                     // 0000000093C4: 7E78413C
	v_exp_f32_e32 v61, v61                                     // 0000000093C8: 7E7A413D
	v_exp_f32_e32 v62, v62                                     // 0000000093CC: 7E7C413E
	v_exp_f32_e32 v63, v63                                     // 0000000093D0: 7E7E413F
	v_exp_f32_e32 v64, v64                                     // 0000000093D4: 7E804140
	v_exp_f32_e32 v65, v65                                     // 0000000093D8: 7E824141
	v_exp_f32_e32 v66, v66                                     // 0000000093DC: 7E844142
	v_exp_f32_e32 v67, v67                                     // 0000000093E0: 7E864143
	v_exp_f32_e32 v68, v68                                     // 0000000093E4: 7E884144
	v_exp_f32_e32 v69, v69                                     // 0000000093E8: 7E8A4145
	v_exp_f32_e32 v70, v70                                     // 0000000093EC: 7E8C4146
	v_exp_f32_e32 v71, v71                                     // 0000000093F0: 7E8E4147
	v_exp_f32_e32 v72, v72                                     // 0000000093F4: 7E904148
	v_exp_f32_e32 v73, v73                                     // 0000000093F8: 7E924149
	v_exp_f32_e32 v74, v74                                     // 0000000093FC: 7E94414A
	v_exp_f32_e32 v75, v75                                     // 000000009400: 7E96414B
	v_mul_f32_e32 v4, v21, v4                                  // 000000009404: 0A080915
	v_mov_b32_e32 v35, v60                                     // 000000009408: 7E46033C
	v_add_f32_e32 v35, v61, v35                                // 00000000940C: 0246473D
	v_add_f32_e32 v35, v62, v35                                // 000000009410: 0246473E
	v_add_f32_e32 v35, v63, v35                                // 000000009414: 0246473F
	v_add_f32_e32 v35, v64, v35                                // 000000009418: 02464740
	v_add_f32_e32 v35, v65, v35                                // 00000000941C: 02464741
	v_add_f32_e32 v35, v66, v35                                // 000000009420: 02464742
	v_add_f32_e32 v35, v67, v35                                // 000000009424: 02464743
	;; [unrolled: 1-line block ×3, first 2 shown]
	v_add_f32_e32 v35, v69, v35                                // 00000000942C: 02464745
	v_add_f32_e32 v35, v70, v35                                // 000000009430: 02464746
	v_add_f32_e32 v35, v71, v35                                // 000000009434: 02464747
	;; [unrolled: 1-line block ×3, first 2 shown]
	v_add_f32_e32 v35, v73, v35                                // 00000000943C: 02464749
	v_add_f32_e32 v35, v74, v35                                // 000000009440: 0246474A
	v_add_f32_e32 v35, v75, v35                                // 000000009444: 0246474B
	v_add_f32_e32 v4, v35, v4                                  // 000000009448: 02080923
	v_cvt_pk_fp8_f32 v60, v60, v61                             // 00000000944C: D2A2003C 00027B3C
	v_cvt_pk_fp8_f32 v60, v62, v63 op_sel:[0,0,1]              // 000000009454: D2A2403C 00027F3E
	v_cvt_pk_fp8_f32 v61, v64, v65                             // 00000000945C: D2A2003D 00028340
	v_cvt_pk_fp8_f32 v61, v66, v67 op_sel:[0,0,1]              // 000000009464: D2A2403D 00028742
	v_cvt_pk_fp8_f32 v62, v68, v69                             // 00000000946C: D2A2003E 00028B44
	v_cvt_pk_fp8_f32 v62, v70, v71 op_sel:[0,0,1]              // 000000009474: D2A2403E 00028F46
	v_cvt_pk_fp8_f32 v63, v72, v73                             // 00000000947C: D2A2003F 00029348
	v_cvt_pk_fp8_f32 v63, v74, v75 op_sel:[0,0,1]              // 000000009484: D2A2403F 0002974A
	ds_write_b128 v43, v[60:63] offset:1024                    // 00000000948C: D9BE0400 00003C2B
	s_waitcnt lgkmcnt(0)                                       // 000000009494: BF8CC07F
	s_barrier                                                  // 000000009498: BF8A0000
	ds_read_b128 v[60:63], v42 offset:1024                     // 00000000949C: D9FE0400 3C00002A
	ds_read_b128 v[64:67], v42 offset:2048                     // 0000000094A4: D9FE0800 4000002A
	s_waitcnt lgkmcnt(0)                                       // 0000000094AC: BF8CC07F
	v_permlane32_swap_b32_e32 v60, v62                         // 0000000094B0: 7E78B53E
	v_permlane32_swap_b32_e32 v61, v63                         // 0000000094B4: 7E7AB53F
	v_swap_b32 v61, v62                                        // 0000000094B8: 7E7AA33E
	v_permlane32_swap_b32_e32 v64, v66                         // 0000000094BC: 7E80B542
	v_permlane32_swap_b32_e32 v65, v67                         // 0000000094C0: 7E82B543
	v_swap_b32 v65, v66                                        // 0000000094C4: 7E82A342
	ds_read_b64_tr_b8 a[72:73], v17                            // 0000000094C8: DBC40000 48000011
	ds_read_b64_tr_b8 a[74:75], v18                            // 0000000094D0: DBC40000 4A000012
	ds_read_b64_tr_b8 a[76:77], v17 offset:18432               // 0000000094D8: DBC44800 4C000011
	ds_read_b64_tr_b8 a[78:79], v18 offset:18432               // 0000000094E0: DBC44800 4E000012
	ds_read_b64_tr_b8 a[80:81], v19                            // 0000000094E8: DBC40000 50000013
	ds_read_b64_tr_b8 a[82:83], v20                            // 0000000094F0: DBC40000 52000014
	ds_read_b64_tr_b8 a[84:85], v19 offset:18432               // 0000000094F8: DBC44800 54000013
	ds_read_b64_tr_b8 a[86:87], v20 offset:18432               // 000000009500: DBC44800 56000014
	ds_read_b64_tr_b8 a[88:89], v17 offset:1024                // 000000009508: DBC40400 58000011
	ds_read_b64_tr_b8 a[90:91], v18 offset:1024                // 000000009510: DBC40400 5A000012
	ds_read_b64_tr_b8 a[92:93], v17 offset:19456               // 000000009518: DBC44C00 5C000011
	ds_read_b64_tr_b8 a[94:95], v18 offset:19456               // 000000009520: DBC44C00 5E000012
	ds_read_b64_tr_b8 a[96:97], v19 offset:1024                // 000000009528: DBC40400 60000013
	ds_read_b64_tr_b8 a[98:99], v20 offset:1024                // 000000009530: DBC40400 62000014
	ds_read_b64_tr_b8 a[100:101], v19 offset:19456             // 000000009538: DBC44C00 64000013
	ds_read_b64_tr_b8 a[102:103], v20 offset:19456             // 000000009540: DBC44C00 66000014
	ds_read_b64_tr_b8 a[104:105], v17 offset:2048              // 000000009548: DBC40800 68000011
	ds_read_b64_tr_b8 a[106:107], v18 offset:2048              // 000000009550: DBC40800 6A000012
	ds_read_b64_tr_b8 a[108:109], v17 offset:20480             // 000000009558: DBC45000 6C000011
	ds_read_b64_tr_b8 a[110:111], v18 offset:20480             // 000000009560: DBC45000 6E000012
	ds_read_b64_tr_b8 a[112:113], v19 offset:2048              // 000000009568: DBC40800 70000013
	ds_read_b64_tr_b8 a[114:115], v20 offset:2048              // 000000009570: DBC40800 72000014
	ds_read_b64_tr_b8 a[116:117], v19 offset:20480             // 000000009578: DBC45000 74000013
	ds_read_b64_tr_b8 a[118:119], v20 offset:20480             // 000000009580: DBC45000 76000014
	ds_read_b64_tr_b8 a[120:121], v17 offset:3072              // 000000009588: DBC40C00 78000011
	ds_read_b64_tr_b8 a[122:123], v18 offset:3072              // 000000009590: DBC40C00 7A000012
	ds_read_b64_tr_b8 a[124:125], v17 offset:21504             // 000000009598: DBC45400 7C000011
	ds_read_b64_tr_b8 a[126:127], v18 offset:21504             // 0000000095A0: DBC45400 7E000012
	ds_read_b64_tr_b8 a[128:129], v19 offset:3072              // 0000000095A8: DBC40C00 80000013
	ds_read_b64_tr_b8 a[130:131], v20 offset:3072              // 0000000095B0: DBC40C00 82000014
	ds_read_b64_tr_b8 a[132:133], v19 offset:21504             // 0000000095B8: DBC45400 84000013
	ds_read_b64_tr_b8 a[134:135], v20 offset:21504             // 0000000095C0: DBC45400 86000014
	s_waitcnt lgkmcnt(4)                                       // 0000000095C8: BF8CC47F
	v_mfma_f32_32x32x64_f8f6f4 v[76:91], a[72:79], v[44:51], v[76:91]// 0000000095CC: D3AE004C 0D325948
	ds_read_b64_tr_b8 a[72:73], v5                             // 0000000095D4: DBC40000 48000005
	ds_read_b64_tr_b8 a[74:75], v6                             // 0000000095DC: DBC40000 4A000006
	ds_read_b64_tr_b8 a[76:77], v5 offset:18432                // 0000000095E4: DBC44800 4C000005
	ds_read_b64_tr_b8 a[78:79], v6 offset:18432                // 0000000095EC: DBC44800 4E000006
	v_mfma_f32_32x32x64_f8f6f4 v[92:107], a[80:87], v[44:51], v[92:107]// 0000000095F4: D3AE005C 0D725950
	ds_read_b64_tr_b8 a[80:81], v7                             // 0000000095FC: DBC40000 50000007
	ds_read_b64_tr_b8 a[82:83], v8                             // 000000009604: DBC40000 52000008
	ds_read_b64_tr_b8 a[84:85], v7 offset:18432                // 00000000960C: DBC44800 54000007
	ds_read_b64_tr_b8 a[86:87], v8 offset:18432                // 000000009614: DBC44800 56000008
	v_mfma_f32_32x32x64_f8f6f4 v[108:123], a[88:95], v[44:51], v[108:123]// 00000000961C: D3AE006C 0DB25958
	ds_read_b64_tr_b8 a[88:89], v5 offset:1024                 // 000000009624: DBC40400 58000005
	ds_read_b64_tr_b8 a[90:91], v6 offset:1024                 // 00000000962C: DBC40400 5A000006
	ds_read_b64_tr_b8 a[92:93], v5 offset:19456                // 000000009634: DBC44C00 5C000005
	ds_read_b64_tr_b8 a[94:95], v6 offset:19456                // 00000000963C: DBC44C00 5E000006
	v_mfma_f32_32x32x64_f8f6f4 v[124:139], a[96:103], v[44:51], v[124:139]// 000000009644: D3AE007C 0DF25960
	ds_read_b64_tr_b8 a[96:97], v7 offset:1024                 // 00000000964C: DBC40400 60000007
	ds_read_b64_tr_b8 a[98:99], v8 offset:1024                 // 000000009654: DBC40400 62000008
	ds_read_b64_tr_b8 a[100:101], v7 offset:19456              // 00000000965C: DBC44C00 64000007
	ds_read_b64_tr_b8 a[102:103], v8 offset:19456              // 000000009664: DBC44C00 66000008
	v_mfma_f32_32x32x64_f8f6f4 v[140:155], a[104:111], v[44:51], v[140:155]// 00000000966C: D3AE008C 0E325968
	ds_read_b64_tr_b8 a[104:105], v5 offset:2048               // 000000009674: DBC40800 68000005
	ds_read_b64_tr_b8 a[106:107], v6 offset:2048               // 00000000967C: DBC40800 6A000006
	ds_read_b64_tr_b8 a[108:109], v5 offset:20480              // 000000009684: DBC45000 6C000005
	ds_read_b64_tr_b8 a[110:111], v6 offset:20480              // 00000000968C: DBC45000 6E000006
	v_mfma_f32_32x32x64_f8f6f4 v[156:171], a[112:119], v[44:51], v[156:171]// 000000009694: D3AE009C 0E725970
	ds_read_b64_tr_b8 a[112:113], v7 offset:2048               // 00000000969C: DBC40800 70000007
	ds_read_b64_tr_b8 a[114:115], v8 offset:2048               // 0000000096A4: DBC40800 72000008
	ds_read_b64_tr_b8 a[116:117], v7 offset:20480              // 0000000096AC: DBC45000 74000007
	ds_read_b64_tr_b8 a[118:119], v8 offset:20480              // 0000000096B4: DBC45000 76000008
	v_mfma_f32_32x32x64_f8f6f4 v[172:187], a[120:127], v[44:51], v[172:187]// 0000000096BC: D3AE00AC 0EB25978
	ds_read_b64_tr_b8 a[120:121], v5 offset:3072               // 0000000096C4: DBC40C00 78000005
	ds_read_b64_tr_b8 a[122:123], v6 offset:3072               // 0000000096CC: DBC40C00 7A000006
	ds_read_b64_tr_b8 a[124:125], v5 offset:21504              // 0000000096D4: DBC45400 7C000005
	ds_read_b64_tr_b8 a[126:127], v6 offset:21504              // 0000000096DC: DBC45400 7E000006
	v_mfma_f32_32x32x64_f8f6f4 v[188:203], a[128:135], v[44:51], v[188:203]// 0000000096E4: D3AE00BC 0EF25980
	ds_read_b64_tr_b8 a[128:129], v7 offset:3072               // 0000000096EC: DBC40C00 80000007
	ds_read_b64_tr_b8 a[130:131], v8 offset:3072               // 0000000096F4: DBC40C00 82000008
	ds_read_b64_tr_b8 a[132:133], v7 offset:21504              // 0000000096FC: DBC45400 84000007
	ds_read_b64_tr_b8 a[134:135], v8 offset:21504              // 000000009704: DBC45400 86000008
	v_mov_b32_e32 v36, v21                                     // 00000000970C: 7E480315
	v_mov_b32_e32 v37, v21                                     // 000000009710: 7E4A0315
	v_pk_mul_f32 v[76:77], v[36:37], v[76:77]                  // 000000009714: D3B1404C 18029924
	v_pk_mul_f32 v[78:79], v[36:37], v[78:79]                  // 00000000971C: D3B1404E 18029D24
	v_pk_mul_f32 v[80:81], v[36:37], v[80:81]                  // 000000009724: D3B14050 1802A124
	v_pk_mul_f32 v[82:83], v[36:37], v[82:83]                  // 00000000972C: D3B14052 1802A524
	v_pk_mul_f32 v[84:85], v[36:37], v[84:85]                  // 000000009734: D3B14054 1802A924
	v_pk_mul_f32 v[86:87], v[36:37], v[86:87]                  // 00000000973C: D3B14056 1802AD24
	v_pk_mul_f32 v[88:89], v[36:37], v[88:89]                  // 000000009744: D3B14058 1802B124
	v_pk_mul_f32 v[90:91], v[36:37], v[90:91]                  // 00000000974C: D3B1405A 1802B524
	v_pk_mul_f32 v[92:93], v[36:37], v[92:93]                  // 000000009754: D3B1405C 1802B924
	v_pk_mul_f32 v[94:95], v[36:37], v[94:95]                  // 00000000975C: D3B1405E 1802BD24
	v_pk_mul_f32 v[96:97], v[36:37], v[96:97]                  // 000000009764: D3B14060 1802C124
	v_pk_mul_f32 v[98:99], v[36:37], v[98:99]                  // 00000000976C: D3B14062 1802C524
	v_pk_mul_f32 v[100:101], v[36:37], v[100:101]              // 000000009774: D3B14064 1802C924
	v_pk_mul_f32 v[102:103], v[36:37], v[102:103]              // 00000000977C: D3B14066 1802CD24
	v_pk_mul_f32 v[104:105], v[36:37], v[104:105]              // 000000009784: D3B14068 1802D124
	v_pk_mul_f32 v[106:107], v[36:37], v[106:107]              // 00000000978C: D3B1406A 1802D524
	v_pk_mul_f32 v[108:109], v[36:37], v[108:109]              // 000000009794: D3B1406C 1802D924
	v_pk_mul_f32 v[110:111], v[36:37], v[110:111]              // 00000000979C: D3B1406E 1802DD24
	v_pk_mul_f32 v[112:113], v[36:37], v[112:113]              // 0000000097A4: D3B14070 1802E124
	v_pk_mul_f32 v[114:115], v[36:37], v[114:115]              // 0000000097AC: D3B14072 1802E524
	v_pk_mul_f32 v[116:117], v[36:37], v[116:117]              // 0000000097B4: D3B14074 1802E924
	v_pk_mul_f32 v[118:119], v[36:37], v[118:119]              // 0000000097BC: D3B14076 1802ED24
	v_pk_mul_f32 v[120:121], v[36:37], v[120:121]              // 0000000097C4: D3B14078 1802F124
	v_pk_mul_f32 v[122:123], v[36:37], v[122:123]              // 0000000097CC: D3B1407A 1802F524
	v_pk_mul_f32 v[124:125], v[36:37], v[124:125]              // 0000000097D4: D3B1407C 1802F924
	v_pk_mul_f32 v[126:127], v[36:37], v[126:127]              // 0000000097DC: D3B1407E 1802FD24
	v_pk_mul_f32 v[128:129], v[36:37], v[128:129]              // 0000000097E4: D3B14080 18030124
	v_pk_mul_f32 v[130:131], v[36:37], v[130:131]              // 0000000097EC: D3B14082 18030524
	v_pk_mul_f32 v[132:133], v[36:37], v[132:133]              // 0000000097F4: D3B14084 18030924
	v_pk_mul_f32 v[134:135], v[36:37], v[134:135]              // 0000000097FC: D3B14086 18030D24
	v_pk_mul_f32 v[136:137], v[36:37], v[136:137]              // 000000009804: D3B14088 18031124
	v_pk_mul_f32 v[138:139], v[36:37], v[138:139]              // 00000000980C: D3B1408A 18031524
	v_pk_mul_f32 v[140:141], v[36:37], v[140:141]              // 000000009814: D3B1408C 18031924
	v_pk_mul_f32 v[142:143], v[36:37], v[142:143]              // 00000000981C: D3B1408E 18031D24
	v_pk_mul_f32 v[144:145], v[36:37], v[144:145]              // 000000009824: D3B14090 18032124
	v_pk_mul_f32 v[146:147], v[36:37], v[146:147]              // 00000000982C: D3B14092 18032524
	v_pk_mul_f32 v[148:149], v[36:37], v[148:149]              // 000000009834: D3B14094 18032924
	v_pk_mul_f32 v[150:151], v[36:37], v[150:151]              // 00000000983C: D3B14096 18032D24
	v_pk_mul_f32 v[152:153], v[36:37], v[152:153]              // 000000009844: D3B14098 18033124
	v_pk_mul_f32 v[154:155], v[36:37], v[154:155]              // 00000000984C: D3B1409A 18033524
	v_pk_mul_f32 v[156:157], v[36:37], v[156:157]              // 000000009854: D3B1409C 18033924
	v_pk_mul_f32 v[158:159], v[36:37], v[158:159]              // 00000000985C: D3B1409E 18033D24
	v_pk_mul_f32 v[160:161], v[36:37], v[160:161]              // 000000009864: D3B140A0 18034124
	v_pk_mul_f32 v[162:163], v[36:37], v[162:163]              // 00000000986C: D3B140A2 18034524
	v_pk_mul_f32 v[164:165], v[36:37], v[164:165]              // 000000009874: D3B140A4 18034924
	v_pk_mul_f32 v[166:167], v[36:37], v[166:167]              // 00000000987C: D3B140A6 18034D24
	v_pk_mul_f32 v[168:169], v[36:37], v[168:169]              // 000000009884: D3B140A8 18035124
	v_pk_mul_f32 v[170:171], v[36:37], v[170:171]              // 00000000988C: D3B140AA 18035524
	v_pk_mul_f32 v[172:173], v[36:37], v[172:173]              // 000000009894: D3B140AC 18035924
	v_pk_mul_f32 v[174:175], v[36:37], v[174:175]              // 00000000989C: D3B140AE 18035D24
	v_pk_mul_f32 v[176:177], v[36:37], v[176:177]              // 0000000098A4: D3B140B0 18036124
	v_pk_mul_f32 v[178:179], v[36:37], v[178:179]              // 0000000098AC: D3B140B2 18036524
	v_pk_mul_f32 v[180:181], v[36:37], v[180:181]              // 0000000098B4: D3B140B4 18036924
	v_pk_mul_f32 v[182:183], v[36:37], v[182:183]              // 0000000098BC: D3B140B6 18036D24
	v_pk_mul_f32 v[184:185], v[36:37], v[184:185]              // 0000000098C4: D3B140B8 18037124
	v_pk_mul_f32 v[186:187], v[36:37], v[186:187]              // 0000000098CC: D3B140BA 18037524
	v_pk_mul_f32 v[188:189], v[36:37], v[188:189]              // 0000000098D4: D3B140BC 18037924
	v_pk_mul_f32 v[190:191], v[36:37], v[190:191]              // 0000000098DC: D3B140BE 18037D24
	v_pk_mul_f32 v[192:193], v[36:37], v[192:193]              // 0000000098E4: D3B140C0 18038124
	v_pk_mul_f32 v[194:195], v[36:37], v[194:195]              // 0000000098EC: D3B140C2 18038524
	v_pk_mul_f32 v[196:197], v[36:37], v[196:197]              // 0000000098F4: D3B140C4 18038924
	v_pk_mul_f32 v[198:199], v[36:37], v[198:199]              // 0000000098FC: D3B140C6 18038D24
	v_pk_mul_f32 v[200:201], v[36:37], v[200:201]              // 000000009904: D3B140C8 18039124
	v_pk_mul_f32 v[202:203], v[36:37], v[202:203]              // 00000000990C: D3B140CA 18039524
	s_waitcnt vmcnt(0)                                         // 000000009914: BF8C0F70
	s_barrier                                                  // 000000009918: BF8A0000
	v_mfma_f32_32x32x64_f8f6f4 v[76:91], a[72:79], v[60:67], v[76:91]// 00000000991C: D3AE004C 0D327948
	ds_read_b128 a[72:75], v24                                 // 000000009924: DBFE0000 48000018
	ds_read_b128 a[76:79], v25                                 // 00000000992C: DBFE0000 4C000019
	v_mfma_f32_32x32x64_f8f6f4 v[92:107], a[80:87], v[60:67], v[92:107]// 000000009934: D3AE005C 0D727950
	ds_read_b128 a[80:83], v24 offset:1024                     // 00000000993C: DBFE0400 50000018
	ds_read_b128 a[84:87], v25 offset:1024                     // 000000009944: DBFE0400 54000019
	v_mfma_f32_32x32x64_f8f6f4 v[108:123], a[88:95], v[60:67], v[108:123]// 00000000994C: D3AE006C 0DB27958
	ds_read_b128 a[88:91], v24 offset:2048                     // 000000009954: DBFE0800 58000018
	ds_read_b128 a[92:95], v25 offset:2048                     // 00000000995C: DBFE0800 5C000019
	v_mfma_f32_32x32x64_f8f6f4 v[124:139], a[96:103], v[60:67], v[124:139]// 000000009964: D3AE007C 0DF27960
	ds_read_b128 a[96:99], v24 offset:3072                     // 00000000996C: DBFE0C00 60000018
	ds_read_b128 a[100:103], v25 offset:3072                   // 000000009974: DBFE0C00 64000019
	v_mfma_f32_32x32x64_f8f6f4 v[140:155], a[104:111], v[60:67], v[140:155]// 00000000997C: D3AE008C 0E327968
	ds_read_b128 a[104:107], v24 offset:4096                   // 000000009984: DBFE1000 68000018
	ds_read_b128 a[108:111], v25 offset:4096                   // 00000000998C: DBFE1000 6C000019
	v_mfma_f32_32x32x64_f8f6f4 v[156:171], a[112:119], v[60:67], v[156:171]// 000000009994: D3AE009C 0E727970
	ds_read_b128 a[112:115], v24 offset:5120                   // 00000000999C: DBFE1400 70000018
	ds_read_b128 a[116:119], v25 offset:5120                   // 0000000099A4: DBFE1400 74000019
	v_mfma_f32_32x32x64_f8f6f4 v[172:187], a[120:127], v[60:67], v[172:187]// 0000000099AC: D3AE00AC 0EB27978
	ds_read_b128 a[120:123], v24 offset:6144                   // 0000000099B4: DBFE1800 78000018
	ds_read_b128 a[124:127], v25 offset:6144                   // 0000000099BC: DBFE1800 7C000019
	v_mfma_f32_32x32x64_f8f6f4 v[188:203], a[128:135], v[60:67], v[188:203]// 0000000099C4: D3AE00BC 0EF27980
	ds_read_b128 a[128:131], v24 offset:7168                   // 0000000099CC: DBFE1C00 80000018
	ds_read_b128 a[132:135], v25 offset:7168                   // 0000000099D4: DBFE1C00 84000019
	ds_read_b128 a[136:139], v24 offset:8192                   // 0000000099DC: DBFE2000 88000018
	ds_read_b128 a[140:143], v25 offset:8192                   // 0000000099E4: DBFE2000 8C000019
	s_branch label_75F0                                        // 0000000099EC: BF820000

00000000000099f0 <label_75F0>:
	s_cmp_eq_i32 s48, 0                                        // 0000000099F0: BF008030
	s_cbranch_scc1 label_9C3C                                  // 0000000099F4: BF850991

00000000000099f8 <label_75F8>:
	s_and_b32 s56, 3, s71                                      // 0000000099F8: 86384783
	s_cmp_eq_i32 s56, 1                                        // 0000000099FC: BF008138
	s_cbranch_scc1 label_761C                                  // 000000009A00: BF850006
	s_cmp_eq_i32 s56, 2                                        // 000000009A04: BF008238
	s_cbranch_scc1 label_7FA4                                  // 000000009A08: BF850266
	s_cmp_eq_i32 s56, 3                                        // 000000009A0C: BF008338
	s_cbranch_scc1 label_892C                                  // 000000009A10: BF8504C6
	s_cmp_eq_i32 s56, 0                                        // 000000009A14: BF008038
	s_cbranch_scc1 label_92B4                                  // 000000009A18: BF850726

0000000000009a1c <label_761C>:
	s_waitcnt lgkmcnt(4)                                       // 000000009A1C: BF8CC47F
	v_mfma_f32_32x32x64_f8f6f4 v[60:75], a[72:79], a[0:7], 0   // 000000009A20: D3AE003C 1A020148
	v_mfma_f32_32x32x64_f8f6f4 v[60:75], a[80:87], a[8:15], v[60:75]// 000000009A28: D3AE003C 1CF21150
	v_mfma_f32_32x32x64_f8f6f4 v[60:75], a[88:95], a[16:23], v[60:75]// 000000009A30: D3AE003C 1CF22158
	ds_read_b64_tr_b8 a[72:73], v13                            // 000000009A38: DBC40000 4800000D
	ds_read_b64_tr_b8 a[74:75], v14                            // 000000009A40: DBC40000 4A00000E
	ds_read_b64_tr_b8 a[76:77], v13 offset:18432               // 000000009A48: DBC44800 4C00000D
	ds_read_b64_tr_b8 a[78:79], v14 offset:18432               // 000000009A50: DBC44800 4E00000E
	v_mfma_f32_32x32x64_f8f6f4 v[60:75], a[96:103], a[24:31], v[60:75]// 000000009A58: D3AE003C 1CF23160
	ds_read_b64_tr_b8 a[80:81], v15                            // 000000009A60: DBC40000 5000000F
	ds_read_b64_tr_b8 a[82:83], v16                            // 000000009A68: DBC40000 52000010
	ds_read_b64_tr_b8 a[84:85], v15 offset:18432               // 000000009A70: DBC44800 5400000F
	ds_read_b64_tr_b8 a[86:87], v16 offset:18432               // 000000009A78: DBC44800 56000010
	v_mfma_f32_32x32x64_f8f6f4 v[60:75], a[104:111], a[32:39], v[60:75]// 000000009A80: D3AE003C 1CF24168
	ds_read_b64_tr_b8 a[88:89], v13 offset:1024                // 000000009A88: DBC40400 5800000D
	ds_read_b64_tr_b8 a[90:91], v14 offset:1024                // 000000009A90: DBC40400 5A00000E
	ds_read_b64_tr_b8 a[92:93], v13 offset:19456               // 000000009A98: DBC44C00 5C00000D
	ds_read_b64_tr_b8 a[94:95], v14 offset:19456               // 000000009AA0: DBC44C00 5E00000E
	v_mfma_f32_32x32x64_f8f6f4 v[60:75], a[112:119], a[40:47], v[60:75]// 000000009AA8: D3AE003C 1CF25170
	ds_read_b64_tr_b8 a[96:97], v15 offset:1024                // 000000009AB0: DBC40400 6000000F
	ds_read_b64_tr_b8 a[98:99], v16 offset:1024                // 000000009AB8: DBC40400 62000010
	ds_read_b64_tr_b8 a[100:101], v15 offset:19456             // 000000009AC0: DBC44C00 6400000F
	ds_read_b64_tr_b8 a[102:103], v16 offset:19456             // 000000009AC8: DBC44C00 66000010
	v_mfma_f32_32x32x64_f8f6f4 v[60:75], a[120:127], a[48:55], v[60:75]// 000000009AD0: D3AE003C 1CF26178
	ds_read_b64_tr_b8 a[104:105], v13 offset:2048              // 000000009AD8: DBC40800 6800000D
	ds_read_b64_tr_b8 a[106:107], v14 offset:2048              // 000000009AE0: DBC40800 6A00000E
	ds_read_b64_tr_b8 a[108:109], v13 offset:20480             // 000000009AE8: DBC45000 6C00000D
	ds_read_b64_tr_b8 a[110:111], v14 offset:20480             // 000000009AF0: DBC45000 6E00000E
	v_mfma_f32_32x32x64_f8f6f4 v[60:75], a[128:135], a[56:63], v[60:75]// 000000009AF8: D3AE003C 1CF27180
	ds_read_b64_tr_b8 a[112:113], v15 offset:2048              // 000000009B00: DBC40800 7000000F
	ds_read_b64_tr_b8 a[114:115], v16 offset:2048              // 000000009B08: DBC40800 72000010
	ds_read_b64_tr_b8 a[116:117], v15 offset:20480             // 000000009B10: DBC45000 7400000F
	ds_read_b64_tr_b8 a[118:119], v16 offset:20480             // 000000009B18: DBC45000 76000010
	v_mfma_f32_32x32x64_f8f6f4 v[60:75], a[136:143], a[64:71], v[60:75]// 000000009B20: D3AE003C 1CF28188
	ds_read_b64_tr_b8 a[120:121], v13 offset:3072              // 000000009B28: DBC40C00 7800000D
	ds_read_b64_tr_b8 a[122:123], v14 offset:3072              // 000000009B30: DBC40C00 7A00000E
	ds_read_b64_tr_b8 a[124:125], v13 offset:21504             // 000000009B38: DBC45400 7C00000D
	ds_read_b64_tr_b8 a[126:127], v14 offset:21504             // 000000009B40: DBC45400 7E00000E
	ds_read_b64_tr_b8 a[128:129], v15 offset:3072              // 000000009B48: DBC40C00 8000000F
	ds_read_b64_tr_b8 a[130:131], v16 offset:3072              // 000000009B50: DBC40C00 82000010
	ds_read_b64_tr_b8 a[132:133], v15 offset:21504             // 000000009B58: DBC45400 8400000F
	ds_read_b64_tr_b8 a[134:135], v16 offset:21504             // 000000009B60: DBC45400 86000010
	s_cmp_le_i32 s83, s82                                      // 000000009B68: BF055253
	s_cbranch_scc1 label_7954                                  // 000000009B6C: BF850079
	s_mov_b32 s36, 0xffff0000                                  // 000000009B70: BEA400FF FFFF0000
	s_mov_b32 s37, 0xffff0000                                  // 000000009B78: BEA500FF FFFF0000
	v_mov_b32_e32 v36, s82                                     // 000000009B80: 7E480252
	s_add_i32 s56, s82, 1                                      // 000000009B84: 81388152
	v_mov_b32_e32 v37, s56                                     // 000000009B88: 7E4A0238
	v_cndmask_b32_e64 v35, v36, v37, s[36:37]                  // 000000009B8C: D1000023 00924B24
	s_and_b32 s56, 2, s7                                       // 000000009B94: 86380782
	v_add_i32 v35, s56, v35                                    // 000000009B98: D29C0023 00024638
	s_sub_u32 s56, s83, 64                                     // 000000009BA0: 80B8C053
	v_lshrrev_b32_e32 v204, 5, v0                              // 000000009BA4: 21980085
	v_mul_i32_i24_e32 v204, 4, v204                            // 000000009BA8: 0D999884
	v_add_u32_e32 v204, s56, v204                              // 000000009BAC: 69999838
	s_and_b32 s56, s7, 1                                       // 000000009BB0: 86388107
	s_mov_b32 s57, 32                                          // 000000009BB4: BEB900A0
	s_mul_i32 s56, s57, s56                                    // 000000009BB8: 92383839
	v_add_u32_e32 v204, s56, v204                              // 000000009BBC: 69999838
	v_add_u32_e32 v205, 1, v204                                // 000000009BC0: 699B9881
	v_add_u32_e32 v206, 2, v204                                // 000000009BC4: 699D9882
	v_add_u32_e32 v207, 3, v204                                // 000000009BC8: 699F9883
	v_mov_b32_e32 v37, 0xff800000                              // 000000009BCC: 7E4A02FF FF800000
	v_cmp_le_i32_e64 s[36:37], v204, v35                       // 000000009BD4: D0C30024 000247CC
	s_nop 0                                                    // 000000009BDC: BF800000
	v_cndmask_b32_e64 v60, v37, v60, s[36:37]                  // 000000009BE0: D100003C 00927925
	v_add_u32_e32 v204, 8, v204                                // 000000009BE8: 69999888
	v_cmp_le_i32_e64 s[36:37], v205, v35                       // 000000009BEC: D0C30024 000247CD
	s_nop 0                                                    // 000000009BF4: BF800000
	v_cndmask_b32_e64 v61, v37, v61, s[36:37]                  // 000000009BF8: D100003D 00927B25
	v_add_u32_e32 v205, 8, v205                                // 000000009C00: 699B9A88
	v_cmp_le_i32_e64 s[36:37], v206, v35                       // 000000009C04: D0C30024 000247CE
	s_nop 0                                                    // 000000009C0C: BF800000
	v_cndmask_b32_e64 v62, v37, v62, s[36:37]                  // 000000009C10: D100003E 00927D25
	v_add_u32_e32 v206, 8, v206                                // 000000009C18: 699D9C88
	v_cmp_le_i32_e64 s[36:37], v207, v35                       // 000000009C1C: D0C30024 000247CF
	s_nop 0                                                    // 000000009C24: BF800000
	v_cndmask_b32_e64 v63, v37, v63, s[36:37]                  // 000000009C28: D100003F 00927F25
	v_add_u32_e32 v207, 8, v207                                // 000000009C30: 699F9E88
	v_cmp_le_i32_e64 s[36:37], v204, v35                       // 000000009C34: D0C30024 000247CC
	s_nop 0                                                    // 000000009C3C: BF800000
	v_cndmask_b32_e64 v64, v37, v64, s[36:37]                  // 000000009C40: D1000040 00928125
	v_add_u32_e32 v204, 8, v204                                // 000000009C48: 69999888
	v_cmp_le_i32_e64 s[36:37], v205, v35                       // 000000009C4C: D0C30024 000247CD
	s_nop 0                                                    // 000000009C54: BF800000
	v_cndmask_b32_e64 v65, v37, v65, s[36:37]                  // 000000009C58: D1000041 00928325
	v_add_u32_e32 v205, 8, v205                                // 000000009C60: 699B9A88
	v_cmp_le_i32_e64 s[36:37], v206, v35                       // 000000009C64: D0C30024 000247CE
	s_nop 0                                                    // 000000009C6C: BF800000
	v_cndmask_b32_e64 v66, v37, v66, s[36:37]                  // 000000009C70: D1000042 00928525
	v_add_u32_e32 v206, 8, v206                                // 000000009C78: 699D9C88
	v_cmp_le_i32_e64 s[36:37], v207, v35                       // 000000009C7C: D0C30024 000247CF
	s_nop 0                                                    // 000000009C84: BF800000
	v_cndmask_b32_e64 v67, v37, v67, s[36:37]                  // 000000009C88: D1000043 00928725
	v_add_u32_e32 v207, 8, v207                                // 000000009C90: 699F9E88
	v_cmp_le_i32_e64 s[36:37], v204, v35                       // 000000009C94: D0C30024 000247CC
	s_nop 0                                                    // 000000009C9C: BF800000
	v_cndmask_b32_e64 v68, v37, v68, s[36:37]                  // 000000009CA0: D1000044 00928925
	v_add_u32_e32 v204, 8, v204                                // 000000009CA8: 69999888
	v_cmp_le_i32_e64 s[36:37], v205, v35                       // 000000009CAC: D0C30024 000247CD
	s_nop 0                                                    // 000000009CB4: BF800000
	v_cndmask_b32_e64 v69, v37, v69, s[36:37]                  // 000000009CB8: D1000045 00928B25
	v_add_u32_e32 v205, 8, v205                                // 000000009CC0: 699B9A88
	v_cmp_le_i32_e64 s[36:37], v206, v35                       // 000000009CC4: D0C30024 000247CE
	s_nop 0                                                    // 000000009CCC: BF800000
	v_cndmask_b32_e64 v70, v37, v70, s[36:37]                  // 000000009CD0: D1000046 00928D25
	v_add_u32_e32 v206, 8, v206                                // 000000009CD8: 699D9C88
	v_cmp_le_i32_e64 s[36:37], v207, v35                       // 000000009CDC: D0C30024 000247CF
	s_nop 0                                                    // 000000009CE4: BF800000
	v_cndmask_b32_e64 v71, v37, v71, s[36:37]                  // 000000009CE8: D1000047 00928F25
	v_add_u32_e32 v207, 8, v207                                // 000000009CF0: 699F9E88
	v_cmp_le_i32_e64 s[36:37], v204, v35                       // 000000009CF4: D0C30024 000247CC
	s_nop 0                                                    // 000000009CFC: BF800000
	v_cndmask_b32_e64 v72, v37, v72, s[36:37]                  // 000000009D00: D1000048 00929125
	v_add_u32_e32 v204, 8, v204                                // 000000009D08: 69999888
	v_cmp_le_i32_e64 s[36:37], v205, v35                       // 000000009D0C: D0C30024 000247CD
	s_nop 0                                                    // 000000009D14: BF800000
	v_cndmask_b32_e64 v73, v37, v73, s[36:37]                  // 000000009D18: D1000049 00929325
	v_add_u32_e32 v205, 8, v205                                // 000000009D20: 699B9A88
	v_cmp_le_i32_e64 s[36:37], v206, v35                       // 000000009D24: D0C30024 000247CE
	s_nop 0                                                    // 000000009D2C: BF800000
	v_cndmask_b32_e64 v74, v37, v74, s[36:37]                  // 000000009D30: D100004A 00929525
	v_add_u32_e32 v206, 8, v206                                // 000000009D38: 699D9C88
	v_cmp_le_i32_e64 s[36:37], v207, v35                       // 000000009D3C: D0C30024 000247CF
	s_nop 0                                                    // 000000009D44: BF800000
	v_cndmask_b32_e64 v75, v37, v75, s[36:37]                  // 000000009D48: D100004B 00929725
	v_add_u32_e32 v207, 8, v207                                // 000000009D50: 699F9E88

0000000000009d54 <label_7954>:
	s_and_b32 s56, s48, 0xff                                   // 000000009D54: 8638FF30 000000FF
	v_mov_b32_e32 v36, s56                                     // 000000009D5C: 7E480238
	v_lshrrev_b32_e32 v204, 5, v0                              // 000000009D60: 21980085
	v_mul_i32_i24_e32 v204, 4, v204                            // 000000009D64: 0D999884
	s_and_b32 s56, s7, 1                                       // 000000009D68: 86388107
	s_mov_b32 s57, 32                                          // 000000009D6C: BEB900A0
	s_mul_i32 s56, s57, s56                                    // 000000009D70: 92383839
	v_add_u32_e32 v204, s56, v204                              // 000000009D74: 69999838
	v_add_u32_e32 v205, 1, v204                                // 000000009D78: 699B9881
	v_add_u32_e32 v206, 2, v204                                // 000000009D7C: 699D9882
	v_add_u32_e32 v207, 3, v204                                // 000000009D80: 699F9883
	v_mov_b32_e32 v35, 0xff800000                              // 000000009D84: 7E4602FF FF800000
	v_cmp_lt_u32_e64 s[36:37], v204, v36                       // 000000009D8C: D0C90024 000249CC
	v_add_u32_e32 v204, 8, v204                                // 000000009D94: 69999888
	s_nop 0                                                    // 000000009D98: BF800000
	v_cndmask_b32_e64 v60, v35, v60, s[36:37]                  // 000000009D9C: D100003C 00927923
	v_cmp_lt_u32_e64 s[36:37], v205, v36                       // 000000009DA4: D0C90024 000249CD
	v_add_u32_e32 v205, 8, v205                                // 000000009DAC: 699B9A88
	s_nop 0                                                    // 000000009DB0: BF800000
	v_cndmask_b32_e64 v61, v35, v61, s[36:37]                  // 000000009DB4: D100003D 00927B23
	v_cmp_lt_u32_e64 s[36:37], v206, v36                       // 000000009DBC: D0C90024 000249CE
	v_add_u32_e32 v206, 8, v206                                // 000000009DC4: 699D9C88
	s_nop 0                                                    // 000000009DC8: BF800000
	v_cndmask_b32_e64 v62, v35, v62, s[36:37]                  // 000000009DCC: D100003E 00927D23
	v_cmp_lt_u32_e64 s[36:37], v207, v36                       // 000000009DD4: D0C90024 000249CF
	v_add_u32_e32 v207, 8, v207                                // 000000009DDC: 699F9E88
	s_nop 0                                                    // 000000009DE0: BF800000
	v_cndmask_b32_e64 v63, v35, v63, s[36:37]                  // 000000009DE4: D100003F 00927F23
	v_cmp_lt_u32_e64 s[36:37], v204, v36                       // 000000009DEC: D0C90024 000249CC
	v_add_u32_e32 v204, 8, v204                                // 000000009DF4: 69999888
	s_nop 0                                                    // 000000009DF8: BF800000
	v_cndmask_b32_e64 v64, v35, v64, s[36:37]                  // 000000009DFC: D1000040 00928123
	v_cmp_lt_u32_e64 s[36:37], v205, v36                       // 000000009E04: D0C90024 000249CD
	v_add_u32_e32 v205, 8, v205                                // 000000009E0C: 699B9A88
	s_nop 0                                                    // 000000009E10: BF800000
	v_cndmask_b32_e64 v65, v35, v65, s[36:37]                  // 000000009E14: D1000041 00928323
	v_cmp_lt_u32_e64 s[36:37], v206, v36                       // 000000009E1C: D0C90024 000249CE
	v_add_u32_e32 v206, 8, v206                                // 000000009E24: 699D9C88
	s_nop 0                                                    // 000000009E28: BF800000
	v_cndmask_b32_e64 v66, v35, v66, s[36:37]                  // 000000009E2C: D1000042 00928523
	v_cmp_lt_u32_e64 s[36:37], v207, v36                       // 000000009E34: D0C90024 000249CF
	v_add_u32_e32 v207, 8, v207                                // 000000009E3C: 699F9E88
	s_nop 0                                                    // 000000009E40: BF800000
	v_cndmask_b32_e64 v67, v35, v67, s[36:37]                  // 000000009E44: D1000043 00928723
	v_cmp_lt_u32_e64 s[36:37], v204, v36                       // 000000009E4C: D0C90024 000249CC
	v_add_u32_e32 v204, 8, v204                                // 000000009E54: 69999888
	s_nop 0                                                    // 000000009E58: BF800000
	v_cndmask_b32_e64 v68, v35, v68, s[36:37]                  // 000000009E5C: D1000044 00928923
	v_cmp_lt_u32_e64 s[36:37], v205, v36                       // 000000009E64: D0C90024 000249CD
	v_add_u32_e32 v205, 8, v205                                // 000000009E6C: 699B9A88
	s_nop 0                                                    // 000000009E70: BF800000
	v_cndmask_b32_e64 v69, v35, v69, s[36:37]                  // 000000009E74: D1000045 00928B23
	v_cmp_lt_u32_e64 s[36:37], v206, v36                       // 000000009E7C: D0C90024 000249CE
	v_add_u32_e32 v206, 8, v206                                // 000000009E84: 699D9C88
	s_nop 0                                                    // 000000009E88: BF800000
	v_cndmask_b32_e64 v70, v35, v70, s[36:37]                  // 000000009E8C: D1000046 00928D23
	v_cmp_lt_u32_e64 s[36:37], v207, v36                       // 000000009E94: D0C90024 000249CF
	v_add_u32_e32 v207, 8, v207                                // 000000009E9C: 699F9E88
	s_nop 0                                                    // 000000009EA0: BF800000
	v_cndmask_b32_e64 v71, v35, v71, s[36:37]                  // 000000009EA4: D1000047 00928F23
	v_cmp_lt_u32_e64 s[36:37], v204, v36                       // 000000009EAC: D0C90024 000249CC
	v_add_u32_e32 v204, 8, v204                                // 000000009EB4: 69999888
	s_nop 0                                                    // 000000009EB8: BF800000
	v_cndmask_b32_e64 v72, v35, v72, s[36:37]                  // 000000009EBC: D1000048 00929123
	v_cmp_lt_u32_e64 s[36:37], v205, v36                       // 000000009EC4: D0C90024 000249CD
	v_add_u32_e32 v205, 8, v205                                // 000000009ECC: 699B9A88
	s_nop 0                                                    // 000000009ED0: BF800000
	v_cndmask_b32_e64 v73, v35, v73, s[36:37]                  // 000000009ED4: D1000049 00929323
	v_cmp_lt_u32_e64 s[36:37], v206, v36                       // 000000009EDC: D0C90024 000249CE
	v_add_u32_e32 v206, 8, v206                                // 000000009EE4: 699D9C88
	s_nop 0                                                    // 000000009EE8: BF800000
	v_cndmask_b32_e64 v74, v35, v74, s[36:37]                  // 000000009EEC: D100004A 00929523
	v_cmp_lt_u32_e64 s[36:37], v207, v36                       // 000000009EF4: D0C90024 000249CF
	v_add_u32_e32 v207, 8, v207                                // 000000009EFC: 699F9E88
	s_nop 0                                                    // 000000009F00: BF800000
	v_cndmask_b32_e64 v75, v35, v75, s[36:37]                  // 000000009F04: D100004B 00929723
	s_nop 2                                                    // 000000009F0C: BF800002
	v_mov_b32_e32 v213, v60                                    // 000000009F10: 7FAA033C
	v_max3_f32 v213, v60, v61, v213                            // 000000009F14: D1D300D5 07567B3C
	v_max3_f32 v213, v62, v63, v213                            // 000000009F1C: D1D300D5 07567F3E
	v_max3_f32 v213, v64, v65, v213                            // 000000009F24: D1D300D5 07568340
	v_max3_f32 v213, v66, v67, v213                            // 000000009F2C: D1D300D5 07568742
	v_max3_f32 v213, v68, v69, v213                            // 000000009F34: D1D300D5 07568B44
	v_max3_f32 v213, v70, v71, v213                            // 000000009F3C: D1D300D5 07568F46
	v_max3_f32 v213, v72, v73, v213                            // 000000009F44: D1D300D5 07569348
	v_max3_f32 v213, v74, v75, v213                            // 000000009F4C: D1D300D5 0756974A
	v_mov_b32_e32 v35, v213                                    // 000000009F54: 7E4603D5
	v_mov_b32_e32 v36, v213                                    // 000000009F58: 7E4803D5
	s_nop 1                                                    // 000000009F5C: BF800001
	v_permlane32_swap_b32_e32 v35, v36                         // 000000009F60: 7E46B524
	v_max3_f32 v213, v35, v36, v213                            // 000000009F64: D1D300D5 07564923
	ds_write_b32 v41, v213                                     // 000000009F6C: D81A0000 0000D529
	s_waitcnt lgkmcnt(0)                                       // 000000009F74: BF8CC07F
	s_barrier                                                  // 000000009F78: BF8A0000
	ds_read_b32 v35, v40                                       // 000000009F7C: D86C0000 23000028
	ds_read_b32 v36, v40 offset:256                            // 000000009F84: D86C0100 24000028
	s_waitcnt lgkmcnt(0)                                       // 000000009F8C: BF8CC07F
	v_max3_f32 v213, v35, v36, v213                            // 000000009F90: D1D300D5 07564923
	v_mov_b32_e32 v35, 0xff800000                              // 000000009F98: 7E4602FF FF800000
	v_cmp_eq_u32_e64 s[36:37], v35, v2                         // 000000009FA0: D0CA0024 00020523
	v_max_f32_e32 v216, v213, v2                               // 000000009FA8: 17B005D5
	v_sub_f32_e32 v21, v2, v216                                // 000000009FAC: 042BB102
	v_cndmask_b32_e64 v21, v21, 0, s[36:37]                    // 000000009FB0: D1000015 00910115
	v_mov_b32_e32 v2, v216                                     // 000000009FB8: 7E0403D8
	v_mul_f32_e32 v212, s5, v216                               // 000000009FBC: 0BA9B005
	v_mul_f32_e32 v21, s5, v21                                 // 000000009FC0: 0A2A2A05
	v_exp_f32_e32 v21, v21                                     // 000000009FC4: 7E2A4115
	v_fma_f32 v60, v60, s5, -v212                              // 000000009FC8: D1CB003C 87500B3C
	v_fma_f32 v61, v61, s5, -v212                              // 000000009FD0: D1CB003D 87500B3D
	v_fma_f32 v62, v62, s5, -v212                              // 000000009FD8: D1CB003E 87500B3E
	v_fma_f32 v63, v63, s5, -v212                              // 000000009FE0: D1CB003F 87500B3F
	v_fma_f32 v64, v64, s5, -v212                              // 000000009FE8: D1CB0040 87500B40
	v_fma_f32 v65, v65, s5, -v212                              // 000000009FF0: D1CB0041 87500B41
	v_fma_f32 v66, v66, s5, -v212                              // 000000009FF8: D1CB0042 87500B42
	v_fma_f32 v67, v67, s5, -v212                              // 00000000A000: D1CB0043 87500B43
	v_fma_f32 v68, v68, s5, -v212                              // 00000000A008: D1CB0044 87500B44
	v_fma_f32 v69, v69, s5, -v212                              // 00000000A010: D1CB0045 87500B45
	v_fma_f32 v70, v70, s5, -v212                              // 00000000A018: D1CB0046 87500B46
	v_fma_f32 v71, v71, s5, -v212                              // 00000000A020: D1CB0047 87500B47
	v_fma_f32 v72, v72, s5, -v212                              // 00000000A028: D1CB0048 87500B48
	v_fma_f32 v73, v73, s5, -v212                              // 00000000A030: D1CB0049 87500B49
	v_fma_f32 v74, v74, s5, -v212                              // 00000000A038: D1CB004A 87500B4A
	v_fma_f32 v75, v75, s5, -v212                              // 00000000A040: D1CB004B 87500B4B
	v_mov_b32_e32 v35, 0xffc00000                              // 00000000A048: 7E4602FF FFC00000
	v_exp_f32_e32 v60, v60                                     // 00000000A050: 7E78413C
	v_exp_f32_e32 v61, v61                                     // 00000000A054: 7E7A413D
	v_exp_f32_e32 v62, v62                                     // 00000000A058: 7E7C413E
	v_exp_f32_e32 v63, v63                                     // 00000000A05C: 7E7E413F
	v_exp_f32_e32 v64, v64                                     // 00000000A060: 7E804140
	v_exp_f32_e32 v65, v65                                     // 00000000A064: 7E824141
	v_exp_f32_e32 v66, v66                                     // 00000000A068: 7E844142
	v_exp_f32_e32 v67, v67                                     // 00000000A06C: 7E864143
	v_exp_f32_e32 v68, v68                                     // 00000000A070: 7E884144
	v_exp_f32_e32 v69, v69                                     // 00000000A074: 7E8A4145
	v_exp_f32_e32 v70, v70                                     // 00000000A078: 7E8C4146
	v_exp_f32_e32 v71, v71                                     // 00000000A07C: 7E8E4147
	v_exp_f32_e32 v72, v72                                     // 00000000A080: 7E904148
	v_exp_f32_e32 v73, v73                                     // 00000000A084: 7E924149
	v_exp_f32_e32 v74, v74                                     // 00000000A088: 7E94414A
	v_exp_f32_e32 v75, v75                                     // 00000000A08C: 7E96414B
	v_mul_f32_e32 v4, v21, v4                                  // 00000000A090: 0A080915
	v_mov_b32_e32 v35, v60                                     // 00000000A094: 7E46033C
	v_add_f32_e32 v35, v61, v35                                // 00000000A098: 0246473D
	v_add_f32_e32 v35, v62, v35                                // 00000000A09C: 0246473E
	v_add_f32_e32 v35, v63, v35                                // 00000000A0A0: 0246473F
	v_add_f32_e32 v35, v64, v35                                // 00000000A0A4: 02464740
	v_add_f32_e32 v35, v65, v35                                // 00000000A0A8: 02464741
	v_add_f32_e32 v35, v66, v35                                // 00000000A0AC: 02464742
	v_add_f32_e32 v35, v67, v35                                // 00000000A0B0: 02464743
	v_add_f32_e32 v35, v68, v35                                // 00000000A0B4: 02464744
	v_add_f32_e32 v35, v69, v35                                // 00000000A0B8: 02464745
	v_add_f32_e32 v35, v70, v35                                // 00000000A0BC: 02464746
	v_add_f32_e32 v35, v71, v35                                // 00000000A0C0: 02464747
	v_add_f32_e32 v35, v72, v35                                // 00000000A0C4: 02464748
	v_add_f32_e32 v35, v73, v35                                // 00000000A0C8: 02464749
	v_add_f32_e32 v35, v74, v35                                // 00000000A0CC: 0246474A
	v_add_f32_e32 v35, v75, v35                                // 00000000A0D0: 0246474B
	v_add_f32_e32 v4, v35, v4                                  // 00000000A0D4: 02080923
	v_cvt_pk_fp8_f32 v60, v60, v61                             // 00000000A0D8: D2A2003C 00027B3C
	v_cvt_pk_fp8_f32 v60, v62, v63 op_sel:[0,0,1]              // 00000000A0E0: D2A2403C 00027F3E
	v_cvt_pk_fp8_f32 v61, v64, v65                             // 00000000A0E8: D2A2003D 00028340
	v_cvt_pk_fp8_f32 v61, v66, v67 op_sel:[0,0,1]              // 00000000A0F0: D2A2403D 00028742
	v_cvt_pk_fp8_f32 v62, v68, v69                             // 00000000A0F8: D2A2003E 00028B44
	v_cvt_pk_fp8_f32 v62, v70, v71 op_sel:[0,0,1]              // 00000000A100: D2A2403E 00028F46
	v_cvt_pk_fp8_f32 v63, v72, v73                             // 00000000A108: D2A2003F 00029348
	v_cvt_pk_fp8_f32 v63, v74, v75 op_sel:[0,0,1]              // 00000000A110: D2A2403F 0002974A
	ds_write_b128 v43, v[60:63] offset:1024                    // 00000000A118: D9BE0400 00003C2B
	s_waitcnt lgkmcnt(0)                                       // 00000000A120: BF8CC07F
	s_barrier                                                  // 00000000A124: BF8A0000
	ds_read_b128 v[60:63], v42 offset:1024                     // 00000000A128: D9FE0400 3C00002A
	ds_read_b128 v[64:67], v42 offset:2048                     // 00000000A130: D9FE0800 4000002A
	s_waitcnt lgkmcnt(0)                                       // 00000000A138: BF8CC07F
	v_permlane32_swap_b32_e32 v60, v62                         // 00000000A13C: 7E78B53E
	v_permlane32_swap_b32_e32 v61, v63                         // 00000000A140: 7E7AB53F
	v_swap_b32 v61, v62                                        // 00000000A144: 7E7AA33E
	v_permlane32_swap_b32_e32 v64, v66                         // 00000000A148: 7E80B542
	v_permlane32_swap_b32_e32 v65, v67                         // 00000000A14C: 7E82B543
	v_swap_b32 v65, v66                                        // 00000000A150: 7E82A342
	v_mov_b32_e32 v36, v21                                     // 00000000A154: 7E480315
	v_mov_b32_e32 v37, v21                                     // 00000000A158: 7E4A0315
	v_pk_mul_f32 v[76:77], v[36:37], v[76:77]                  // 00000000A15C: D3B1404C 18029924
	v_pk_mul_f32 v[78:79], v[36:37], v[78:79]                  // 00000000A164: D3B1404E 18029D24
	v_pk_mul_f32 v[80:81], v[36:37], v[80:81]                  // 00000000A16C: D3B14050 1802A124
	v_pk_mul_f32 v[82:83], v[36:37], v[82:83]                  // 00000000A174: D3B14052 1802A524
	v_pk_mul_f32 v[84:85], v[36:37], v[84:85]                  // 00000000A17C: D3B14054 1802A924
	v_pk_mul_f32 v[86:87], v[36:37], v[86:87]                  // 00000000A184: D3B14056 1802AD24
	v_pk_mul_f32 v[88:89], v[36:37], v[88:89]                  // 00000000A18C: D3B14058 1802B124
	v_pk_mul_f32 v[90:91], v[36:37], v[90:91]                  // 00000000A194: D3B1405A 1802B524
	v_pk_mul_f32 v[92:93], v[36:37], v[92:93]                  // 00000000A19C: D3B1405C 1802B924
	v_pk_mul_f32 v[94:95], v[36:37], v[94:95]                  // 00000000A1A4: D3B1405E 1802BD24
	v_pk_mul_f32 v[96:97], v[36:37], v[96:97]                  // 00000000A1AC: D3B14060 1802C124
	v_pk_mul_f32 v[98:99], v[36:37], v[98:99]                  // 00000000A1B4: D3B14062 1802C524
	v_pk_mul_f32 v[100:101], v[36:37], v[100:101]              // 00000000A1BC: D3B14064 1802C924
	v_pk_mul_f32 v[102:103], v[36:37], v[102:103]              // 00000000A1C4: D3B14066 1802CD24
	v_pk_mul_f32 v[104:105], v[36:37], v[104:105]              // 00000000A1CC: D3B14068 1802D124
	v_pk_mul_f32 v[106:107], v[36:37], v[106:107]              // 00000000A1D4: D3B1406A 1802D524
	v_pk_mul_f32 v[108:109], v[36:37], v[108:109]              // 00000000A1DC: D3B1406C 1802D924
	v_pk_mul_f32 v[110:111], v[36:37], v[110:111]              // 00000000A1E4: D3B1406E 1802DD24
	v_pk_mul_f32 v[112:113], v[36:37], v[112:113]              // 00000000A1EC: D3B14070 1802E124
	v_pk_mul_f32 v[114:115], v[36:37], v[114:115]              // 00000000A1F4: D3B14072 1802E524
	v_pk_mul_f32 v[116:117], v[36:37], v[116:117]              // 00000000A1FC: D3B14074 1802E924
	v_pk_mul_f32 v[118:119], v[36:37], v[118:119]              // 00000000A204: D3B14076 1802ED24
	v_pk_mul_f32 v[120:121], v[36:37], v[120:121]              // 00000000A20C: D3B14078 1802F124
	v_pk_mul_f32 v[122:123], v[36:37], v[122:123]              // 00000000A214: D3B1407A 1802F524
	v_pk_mul_f32 v[124:125], v[36:37], v[124:125]              // 00000000A21C: D3B1407C 1802F924
	v_pk_mul_f32 v[126:127], v[36:37], v[126:127]              // 00000000A224: D3B1407E 1802FD24
	v_pk_mul_f32 v[128:129], v[36:37], v[128:129]              // 00000000A22C: D3B14080 18030124
	v_pk_mul_f32 v[130:131], v[36:37], v[130:131]              // 00000000A234: D3B14082 18030524
	v_pk_mul_f32 v[132:133], v[36:37], v[132:133]              // 00000000A23C: D3B14084 18030924
	v_pk_mul_f32 v[134:135], v[36:37], v[134:135]              // 00000000A244: D3B14086 18030D24
	v_pk_mul_f32 v[136:137], v[36:37], v[136:137]              // 00000000A24C: D3B14088 18031124
	v_pk_mul_f32 v[138:139], v[36:37], v[138:139]              // 00000000A254: D3B1408A 18031524
	v_pk_mul_f32 v[140:141], v[36:37], v[140:141]              // 00000000A25C: D3B1408C 18031924
	v_pk_mul_f32 v[142:143], v[36:37], v[142:143]              // 00000000A264: D3B1408E 18031D24
	v_pk_mul_f32 v[144:145], v[36:37], v[144:145]              // 00000000A26C: D3B14090 18032124
	v_pk_mul_f32 v[146:147], v[36:37], v[146:147]              // 00000000A274: D3B14092 18032524
	v_pk_mul_f32 v[148:149], v[36:37], v[148:149]              // 00000000A27C: D3B14094 18032924
	v_pk_mul_f32 v[150:151], v[36:37], v[150:151]              // 00000000A284: D3B14096 18032D24
	v_pk_mul_f32 v[152:153], v[36:37], v[152:153]              // 00000000A28C: D3B14098 18033124
	v_pk_mul_f32 v[154:155], v[36:37], v[154:155]              // 00000000A294: D3B1409A 18033524
	v_pk_mul_f32 v[156:157], v[36:37], v[156:157]              // 00000000A29C: D3B1409C 18033924
	v_pk_mul_f32 v[158:159], v[36:37], v[158:159]              // 00000000A2A4: D3B1409E 18033D24
	v_pk_mul_f32 v[160:161], v[36:37], v[160:161]              // 00000000A2AC: D3B140A0 18034124
	v_pk_mul_f32 v[162:163], v[36:37], v[162:163]              // 00000000A2B4: D3B140A2 18034524
	v_pk_mul_f32 v[164:165], v[36:37], v[164:165]              // 00000000A2BC: D3B140A4 18034924
	v_pk_mul_f32 v[166:167], v[36:37], v[166:167]              // 00000000A2C4: D3B140A6 18034D24
	v_pk_mul_f32 v[168:169], v[36:37], v[168:169]              // 00000000A2CC: D3B140A8 18035124
	v_pk_mul_f32 v[170:171], v[36:37], v[170:171]              // 00000000A2D4: D3B140AA 18035524
	v_pk_mul_f32 v[172:173], v[36:37], v[172:173]              // 00000000A2DC: D3B140AC 18035924
	v_pk_mul_f32 v[174:175], v[36:37], v[174:175]              // 00000000A2E4: D3B140AE 18035D24
	v_pk_mul_f32 v[176:177], v[36:37], v[176:177]              // 00000000A2EC: D3B140B0 18036124
	v_pk_mul_f32 v[178:179], v[36:37], v[178:179]              // 00000000A2F4: D3B140B2 18036524
	v_pk_mul_f32 v[180:181], v[36:37], v[180:181]              // 00000000A2FC: D3B140B4 18036924
	v_pk_mul_f32 v[182:183], v[36:37], v[182:183]              // 00000000A304: D3B140B6 18036D24
	v_pk_mul_f32 v[184:185], v[36:37], v[184:185]              // 00000000A30C: D3B140B8 18037124
	v_pk_mul_f32 v[186:187], v[36:37], v[186:187]              // 00000000A314: D3B140BA 18037524
	v_pk_mul_f32 v[188:189], v[36:37], v[188:189]              // 00000000A31C: D3B140BC 18037924
	v_pk_mul_f32 v[190:191], v[36:37], v[190:191]              // 00000000A324: D3B140BE 18037D24
	v_pk_mul_f32 v[192:193], v[36:37], v[192:193]              // 00000000A32C: D3B140C0 18038124
	v_pk_mul_f32 v[194:195], v[36:37], v[194:195]              // 00000000A334: D3B140C2 18038524
	v_pk_mul_f32 v[196:197], v[36:37], v[196:197]              // 00000000A33C: D3B140C4 18038924
	v_pk_mul_f32 v[198:199], v[36:37], v[198:199]              // 00000000A344: D3B140C6 18038D24
	v_pk_mul_f32 v[200:201], v[36:37], v[200:201]              // 00000000A34C: D3B140C8 18039124
	v_pk_mul_f32 v[202:203], v[36:37], v[202:203]              // 00000000A354: D3B140CA 18039524
	v_mfma_f32_32x32x64_f8f6f4 v[76:91], a[72:79], v[60:67], v[76:91]// 00000000A35C: D3AE004C 0D327948
	v_mfma_f32_32x32x64_f8f6f4 v[92:107], a[80:87], v[60:67], v[92:107]// 00000000A364: D3AE005C 0D727950
	v_mfma_f32_32x32x64_f8f6f4 v[108:123], a[88:95], v[60:67], v[108:123]// 00000000A36C: D3AE006C 0DB27958
	v_mfma_f32_32x32x64_f8f6f4 v[124:139], a[96:103], v[60:67], v[124:139]// 00000000A374: D3AE007C 0DF27960
	v_mfma_f32_32x32x64_f8f6f4 v[140:155], a[104:111], v[60:67], v[140:155]// 00000000A37C: D3AE008C 0E327968
	v_mfma_f32_32x32x64_f8f6f4 v[156:171], a[112:119], v[60:67], v[156:171]// 00000000A384: D3AE009C 0E727970
	v_mfma_f32_32x32x64_f8f6f4 v[172:187], a[120:127], v[60:67], v[172:187]// 00000000A38C: D3AE00AC 0EB27978
	v_mfma_f32_32x32x64_f8f6f4 v[188:203], a[128:135], v[60:67], v[188:203]// 00000000A394: D3AE00BC 0EF27980
	s_nop 8                                                    // 00000000A39C: BF800008
	s_branch label_9C3C                                        // 00000000A3A0: BF820726

000000000000a3a4 <label_7FA4>:
	s_waitcnt lgkmcnt(4)                                       // 00000000A3A4: BF8CC47F
	v_mfma_f32_32x32x64_f8f6f4 v[44:59], a[72:79], a[0:7], 0   // 00000000A3A8: D3AE002C 1A020148
	v_mfma_f32_32x32x64_f8f6f4 v[44:59], a[80:87], a[8:15], v[44:59]// 00000000A3B0: D3AE002C 1CB21150
	v_mfma_f32_32x32x64_f8f6f4 v[44:59], a[88:95], a[16:23], v[44:59]// 00000000A3B8: D3AE002C 1CB22158
	ds_read_b64_tr_b8 a[72:73], v17                            // 00000000A3C0: DBC40000 48000011
	ds_read_b64_tr_b8 a[74:75], v18                            // 00000000A3C8: DBC40000 4A000012
	ds_read_b64_tr_b8 a[76:77], v17 offset:18432               // 00000000A3D0: DBC44800 4C000011
	ds_read_b64_tr_b8 a[78:79], v18 offset:18432               // 00000000A3D8: DBC44800 4E000012
	v_mfma_f32_32x32x64_f8f6f4 v[44:59], a[96:103], a[24:31], v[44:59]// 00000000A3E0: D3AE002C 1CB23160
	ds_read_b64_tr_b8 a[80:81], v19                            // 00000000A3E8: DBC40000 50000013
	ds_read_b64_tr_b8 a[82:83], v20                            // 00000000A3F0: DBC40000 52000014
	ds_read_b64_tr_b8 a[84:85], v19 offset:18432               // 00000000A3F8: DBC44800 54000013
	ds_read_b64_tr_b8 a[86:87], v20 offset:18432               // 00000000A400: DBC44800 56000014
	v_mfma_f32_32x32x64_f8f6f4 v[44:59], a[104:111], a[32:39], v[44:59]// 00000000A408: D3AE002C 1CB24168
	ds_read_b64_tr_b8 a[88:89], v17 offset:1024                // 00000000A410: DBC40400 58000011
	ds_read_b64_tr_b8 a[90:91], v18 offset:1024                // 00000000A418: DBC40400 5A000012
	ds_read_b64_tr_b8 a[92:93], v17 offset:19456               // 00000000A420: DBC44C00 5C000011
	ds_read_b64_tr_b8 a[94:95], v18 offset:19456               // 00000000A428: DBC44C00 5E000012
	v_mfma_f32_32x32x64_f8f6f4 v[44:59], a[112:119], a[40:47], v[44:59]// 00000000A430: D3AE002C 1CB25170
	ds_read_b64_tr_b8 a[96:97], v19 offset:1024                // 00000000A438: DBC40400 60000013
	ds_read_b64_tr_b8 a[98:99], v20 offset:1024                // 00000000A440: DBC40400 62000014
	ds_read_b64_tr_b8 a[100:101], v19 offset:19456             // 00000000A448: DBC44C00 64000013
	ds_read_b64_tr_b8 a[102:103], v20 offset:19456             // 00000000A450: DBC44C00 66000014
	v_mfma_f32_32x32x64_f8f6f4 v[44:59], a[120:127], a[48:55], v[44:59]// 00000000A458: D3AE002C 1CB26178
	ds_read_b64_tr_b8 a[104:105], v17 offset:2048              // 00000000A460: DBC40800 68000011
	ds_read_b64_tr_b8 a[106:107], v18 offset:2048              // 00000000A468: DBC40800 6A000012
	ds_read_b64_tr_b8 a[108:109], v17 offset:20480             // 00000000A470: DBC45000 6C000011
	ds_read_b64_tr_b8 a[110:111], v18 offset:20480             // 00000000A478: DBC45000 6E000012
	v_mfma_f32_32x32x64_f8f6f4 v[44:59], a[128:135], a[56:63], v[44:59]// 00000000A480: D3AE002C 1CB27180
	ds_read_b64_tr_b8 a[112:113], v19 offset:2048              // 00000000A488: DBC40800 70000013
	ds_read_b64_tr_b8 a[114:115], v20 offset:2048              // 00000000A490: DBC40800 72000014
	ds_read_b64_tr_b8 a[116:117], v19 offset:20480             // 00000000A498: DBC45000 74000013
	ds_read_b64_tr_b8 a[118:119], v20 offset:20480             // 00000000A4A0: DBC45000 76000014
	v_mfma_f32_32x32x64_f8f6f4 v[44:59], a[136:143], a[64:71], v[44:59]// 00000000A4A8: D3AE002C 1CB28188
	ds_read_b64_tr_b8 a[120:121], v17 offset:3072              // 00000000A4B0: DBC40C00 78000011
	ds_read_b64_tr_b8 a[122:123], v18 offset:3072              // 00000000A4B8: DBC40C00 7A000012
	ds_read_b64_tr_b8 a[124:125], v17 offset:21504             // 00000000A4C0: DBC45400 7C000011
	ds_read_b64_tr_b8 a[126:127], v18 offset:21504             // 00000000A4C8: DBC45400 7E000012
	ds_read_b64_tr_b8 a[128:129], v19 offset:3072              // 00000000A4D0: DBC40C00 80000013
	ds_read_b64_tr_b8 a[130:131], v20 offset:3072              // 00000000A4D8: DBC40C00 82000014
	ds_read_b64_tr_b8 a[132:133], v19 offset:21504             // 00000000A4E0: DBC45400 84000013
	ds_read_b64_tr_b8 a[134:135], v20 offset:21504             // 00000000A4E8: DBC45400 86000014
	s_cmp_le_i32 s83, s82                                      // 00000000A4F0: BF055253
	s_cbranch_scc1 label_82DC                                  // 00000000A4F4: BF850079
	s_mov_b32 s36, 0xffff0000                                  // 00000000A4F8: BEA400FF FFFF0000
	s_mov_b32 s37, 0xffff0000                                  // 00000000A500: BEA500FF FFFF0000
	v_mov_b32_e32 v36, s82                                     // 00000000A508: 7E480252
	s_add_i32 s56, s82, 1                                      // 00000000A50C: 81388152
	v_mov_b32_e32 v37, s56                                     // 00000000A510: 7E4A0238
	v_cndmask_b32_e64 v35, v36, v37, s[36:37]                  // 00000000A514: D1000023 00924B24
	s_and_b32 s56, 2, s7                                       // 00000000A51C: 86380782
	v_add_i32 v35, s56, v35                                    // 00000000A520: D29C0023 00024638
	s_sub_u32 s56, s83, 64                                     // 00000000A528: 80B8C053
	v_lshrrev_b32_e32 v204, 5, v0                              // 00000000A52C: 21980085
	v_mul_i32_i24_e32 v204, 4, v204                            // 00000000A530: 0D999884
	v_add_u32_e32 v204, s56, v204                              // 00000000A534: 69999838
	s_and_b32 s56, s7, 1                                       // 00000000A538: 86388107
	s_mov_b32 s57, 32                                          // 00000000A53C: BEB900A0
	s_mul_i32 s56, s57, s56                                    // 00000000A540: 92383839
	v_add_u32_e32 v204, s56, v204                              // 00000000A544: 69999838
	v_add_u32_e32 v205, 1, v204                                // 00000000A548: 699B9881
	v_add_u32_e32 v206, 2, v204                                // 00000000A54C: 699D9882
	v_add_u32_e32 v207, 3, v204                                // 00000000A550: 699F9883
	v_mov_b32_e32 v37, 0xff800000                              // 00000000A554: 7E4A02FF FF800000
	v_cmp_le_i32_e64 s[36:37], v204, v35                       // 00000000A55C: D0C30024 000247CC
	s_nop 0                                                    // 00000000A564: BF800000
	v_cndmask_b32_e64 v44, v37, v44, s[36:37]                  // 00000000A568: D100002C 00925925
	v_add_u32_e32 v204, 8, v204                                // 00000000A570: 69999888
	v_cmp_le_i32_e64 s[36:37], v205, v35                       // 00000000A574: D0C30024 000247CD
	s_nop 0                                                    // 00000000A57C: BF800000
	v_cndmask_b32_e64 v45, v37, v45, s[36:37]                  // 00000000A580: D100002D 00925B25
	v_add_u32_e32 v205, 8, v205                                // 00000000A588: 699B9A88
	v_cmp_le_i32_e64 s[36:37], v206, v35                       // 00000000A58C: D0C30024 000247CE
	s_nop 0                                                    // 00000000A594: BF800000
	v_cndmask_b32_e64 v46, v37, v46, s[36:37]                  // 00000000A598: D100002E 00925D25
	v_add_u32_e32 v206, 8, v206                                // 00000000A5A0: 699D9C88
	v_cmp_le_i32_e64 s[36:37], v207, v35                       // 00000000A5A4: D0C30024 000247CF
	s_nop 0                                                    // 00000000A5AC: BF800000
	v_cndmask_b32_e64 v47, v37, v47, s[36:37]                  // 00000000A5B0: D100002F 00925F25
	v_add_u32_e32 v207, 8, v207                                // 00000000A5B8: 699F9E88
	v_cmp_le_i32_e64 s[36:37], v204, v35                       // 00000000A5BC: D0C30024 000247CC
	s_nop 0                                                    // 00000000A5C4: BF800000
	v_cndmask_b32_e64 v48, v37, v48, s[36:37]                  // 00000000A5C8: D1000030 00926125
	v_add_u32_e32 v204, 8, v204                                // 00000000A5D0: 69999888
	v_cmp_le_i32_e64 s[36:37], v205, v35                       // 00000000A5D4: D0C30024 000247CD
	s_nop 0                                                    // 00000000A5DC: BF800000
	v_cndmask_b32_e64 v49, v37, v49, s[36:37]                  // 00000000A5E0: D1000031 00926325
	v_add_u32_e32 v205, 8, v205                                // 00000000A5E8: 699B9A88
	v_cmp_le_i32_e64 s[36:37], v206, v35                       // 00000000A5EC: D0C30024 000247CE
	s_nop 0                                                    // 00000000A5F4: BF800000
	v_cndmask_b32_e64 v50, v37, v50, s[36:37]                  // 00000000A5F8: D1000032 00926525
	v_add_u32_e32 v206, 8, v206                                // 00000000A600: 699D9C88
	v_cmp_le_i32_e64 s[36:37], v207, v35                       // 00000000A604: D0C30024 000247CF
	s_nop 0                                                    // 00000000A60C: BF800000
	v_cndmask_b32_e64 v51, v37, v51, s[36:37]                  // 00000000A610: D1000033 00926725
	v_add_u32_e32 v207, 8, v207                                // 00000000A618: 699F9E88
	v_cmp_le_i32_e64 s[36:37], v204, v35                       // 00000000A61C: D0C30024 000247CC
	s_nop 0                                                    // 00000000A624: BF800000
	v_cndmask_b32_e64 v52, v37, v52, s[36:37]                  // 00000000A628: D1000034 00926925
	v_add_u32_e32 v204, 8, v204                                // 00000000A630: 69999888
	v_cmp_le_i32_e64 s[36:37], v205, v35                       // 00000000A634: D0C30024 000247CD
	s_nop 0                                                    // 00000000A63C: BF800000
	v_cndmask_b32_e64 v53, v37, v53, s[36:37]                  // 00000000A640: D1000035 00926B25
	v_add_u32_e32 v205, 8, v205                                // 00000000A648: 699B9A88
	v_cmp_le_i32_e64 s[36:37], v206, v35                       // 00000000A64C: D0C30024 000247CE
	s_nop 0                                                    // 00000000A654: BF800000
	v_cndmask_b32_e64 v54, v37, v54, s[36:37]                  // 00000000A658: D1000036 00926D25
	v_add_u32_e32 v206, 8, v206                                // 00000000A660: 699D9C88
	v_cmp_le_i32_e64 s[36:37], v207, v35                       // 00000000A664: D0C30024 000247CF
	s_nop 0                                                    // 00000000A66C: BF800000
	v_cndmask_b32_e64 v55, v37, v55, s[36:37]                  // 00000000A670: D1000037 00926F25
	v_add_u32_e32 v207, 8, v207                                // 00000000A678: 699F9E88
	v_cmp_le_i32_e64 s[36:37], v204, v35                       // 00000000A67C: D0C30024 000247CC
	s_nop 0                                                    // 00000000A684: BF800000
	v_cndmask_b32_e64 v56, v37, v56, s[36:37]                  // 00000000A688: D1000038 00927125
	v_add_u32_e32 v204, 8, v204                                // 00000000A690: 69999888
	v_cmp_le_i32_e64 s[36:37], v205, v35                       // 00000000A694: D0C30024 000247CD
	s_nop 0                                                    // 00000000A69C: BF800000
	v_cndmask_b32_e64 v57, v37, v57, s[36:37]                  // 00000000A6A0: D1000039 00927325
	v_add_u32_e32 v205, 8, v205                                // 00000000A6A8: 699B9A88
	v_cmp_le_i32_e64 s[36:37], v206, v35                       // 00000000A6AC: D0C30024 000247CE
	s_nop 0                                                    // 00000000A6B4: BF800000
	v_cndmask_b32_e64 v58, v37, v58, s[36:37]                  // 00000000A6B8: D100003A 00927525
	v_add_u32_e32 v206, 8, v206                                // 00000000A6C0: 699D9C88
	v_cmp_le_i32_e64 s[36:37], v207, v35                       // 00000000A6C4: D0C30024 000247CF
	s_nop 0                                                    // 00000000A6CC: BF800000
	v_cndmask_b32_e64 v59, v37, v59, s[36:37]                  // 00000000A6D0: D100003B 00927725
	v_add_u32_e32 v207, 8, v207                                // 00000000A6D8: 699F9E88

000000000000a6dc <label_82DC>:
	s_and_b32 s56, s48, 0xff                                   // 00000000A6DC: 8638FF30 000000FF
	v_mov_b32_e32 v36, s56                                     // 00000000A6E4: 7E480238
	v_lshrrev_b32_e32 v204, 5, v0                              // 00000000A6E8: 21980085
	v_mul_i32_i24_e32 v204, 4, v204                            // 00000000A6EC: 0D999884
	s_and_b32 s56, s7, 1                                       // 00000000A6F0: 86388107
	s_mov_b32 s57, 32                                          // 00000000A6F4: BEB900A0
	s_mul_i32 s56, s57, s56                                    // 00000000A6F8: 92383839
	v_add_u32_e32 v204, s56, v204                              // 00000000A6FC: 69999838
	v_add_u32_e32 v205, 1, v204                                // 00000000A700: 699B9881
	v_add_u32_e32 v206, 2, v204                                // 00000000A704: 699D9882
	v_add_u32_e32 v207, 3, v204                                // 00000000A708: 699F9883
	v_mov_b32_e32 v35, 0xff800000                              // 00000000A70C: 7E4602FF FF800000
	v_cmp_lt_u32_e64 s[36:37], v204, v36                       // 00000000A714: D0C90024 000249CC
	v_add_u32_e32 v204, 8, v204                                // 00000000A71C: 69999888
	s_nop 0                                                    // 00000000A720: BF800000
	v_cndmask_b32_e64 v44, v35, v44, s[36:37]                  // 00000000A724: D100002C 00925923
	v_cmp_lt_u32_e64 s[36:37], v205, v36                       // 00000000A72C: D0C90024 000249CD
	v_add_u32_e32 v205, 8, v205                                // 00000000A734: 699B9A88
	s_nop 0                                                    // 00000000A738: BF800000
	v_cndmask_b32_e64 v45, v35, v45, s[36:37]                  // 00000000A73C: D100002D 00925B23
	v_cmp_lt_u32_e64 s[36:37], v206, v36                       // 00000000A744: D0C90024 000249CE
	v_add_u32_e32 v206, 8, v206                                // 00000000A74C: 699D9C88
	s_nop 0                                                    // 00000000A750: BF800000
	v_cndmask_b32_e64 v46, v35, v46, s[36:37]                  // 00000000A754: D100002E 00925D23
	v_cmp_lt_u32_e64 s[36:37], v207, v36                       // 00000000A75C: D0C90024 000249CF
	v_add_u32_e32 v207, 8, v207                                // 00000000A764: 699F9E88
	s_nop 0                                                    // 00000000A768: BF800000
	v_cndmask_b32_e64 v47, v35, v47, s[36:37]                  // 00000000A76C: D100002F 00925F23
	v_cmp_lt_u32_e64 s[36:37], v204, v36                       // 00000000A774: D0C90024 000249CC
	v_add_u32_e32 v204, 8, v204                                // 00000000A77C: 69999888
	s_nop 0                                                    // 00000000A780: BF800000
	v_cndmask_b32_e64 v48, v35, v48, s[36:37]                  // 00000000A784: D1000030 00926123
	v_cmp_lt_u32_e64 s[36:37], v205, v36                       // 00000000A78C: D0C90024 000249CD
	v_add_u32_e32 v205, 8, v205                                // 00000000A794: 699B9A88
	s_nop 0                                                    // 00000000A798: BF800000
	v_cndmask_b32_e64 v49, v35, v49, s[36:37]                  // 00000000A79C: D1000031 00926323
	v_cmp_lt_u32_e64 s[36:37], v206, v36                       // 00000000A7A4: D0C90024 000249CE
	v_add_u32_e32 v206, 8, v206                                // 00000000A7AC: 699D9C88
	s_nop 0                                                    // 00000000A7B0: BF800000
	v_cndmask_b32_e64 v50, v35, v50, s[36:37]                  // 00000000A7B4: D1000032 00926523
	v_cmp_lt_u32_e64 s[36:37], v207, v36                       // 00000000A7BC: D0C90024 000249CF
	v_add_u32_e32 v207, 8, v207                                // 00000000A7C4: 699F9E88
	s_nop 0                                                    // 00000000A7C8: BF800000
	v_cndmask_b32_e64 v51, v35, v51, s[36:37]                  // 00000000A7CC: D1000033 00926723
	v_cmp_lt_u32_e64 s[36:37], v204, v36                       // 00000000A7D4: D0C90024 000249CC
	v_add_u32_e32 v204, 8, v204                                // 00000000A7DC: 69999888
	s_nop 0                                                    // 00000000A7E0: BF800000
	v_cndmask_b32_e64 v52, v35, v52, s[36:37]                  // 00000000A7E4: D1000034 00926923
	v_cmp_lt_u32_e64 s[36:37], v205, v36                       // 00000000A7EC: D0C90024 000249CD
	v_add_u32_e32 v205, 8, v205                                // 00000000A7F4: 699B9A88
	s_nop 0                                                    // 00000000A7F8: BF800000
	v_cndmask_b32_e64 v53, v35, v53, s[36:37]                  // 00000000A7FC: D1000035 00926B23
	v_cmp_lt_u32_e64 s[36:37], v206, v36                       // 00000000A804: D0C90024 000249CE
	v_add_u32_e32 v206, 8, v206                                // 00000000A80C: 699D9C88
	s_nop 0                                                    // 00000000A810: BF800000
	v_cndmask_b32_e64 v54, v35, v54, s[36:37]                  // 00000000A814: D1000036 00926D23
	v_cmp_lt_u32_e64 s[36:37], v207, v36                       // 00000000A81C: D0C90024 000249CF
	v_add_u32_e32 v207, 8, v207                                // 00000000A824: 699F9E88
	s_nop 0                                                    // 00000000A828: BF800000
	v_cndmask_b32_e64 v55, v35, v55, s[36:37]                  // 00000000A82C: D1000037 00926F23
	v_cmp_lt_u32_e64 s[36:37], v204, v36                       // 00000000A834: D0C90024 000249CC
	v_add_u32_e32 v204, 8, v204                                // 00000000A83C: 69999888
	s_nop 0                                                    // 00000000A840: BF800000
	v_cndmask_b32_e64 v56, v35, v56, s[36:37]                  // 00000000A844: D1000038 00927123
	v_cmp_lt_u32_e64 s[36:37], v205, v36                       // 00000000A84C: D0C90024 000249CD
	v_add_u32_e32 v205, 8, v205                                // 00000000A854: 699B9A88
	s_nop 0                                                    // 00000000A858: BF800000
	v_cndmask_b32_e64 v57, v35, v57, s[36:37]                  // 00000000A85C: D1000039 00927323
	v_cmp_lt_u32_e64 s[36:37], v206, v36                       // 00000000A864: D0C90024 000249CE
	v_add_u32_e32 v206, 8, v206                                // 00000000A86C: 699D9C88
	s_nop 0                                                    // 00000000A870: BF800000
	v_cndmask_b32_e64 v58, v35, v58, s[36:37]                  // 00000000A874: D100003A 00927523
	v_cmp_lt_u32_e64 s[36:37], v207, v36                       // 00000000A87C: D0C90024 000249CF
	v_add_u32_e32 v207, 8, v207                                // 00000000A884: 699F9E88
	s_nop 0                                                    // 00000000A888: BF800000
	v_cndmask_b32_e64 v59, v35, v59, s[36:37]                  // 00000000A88C: D100003B 00927723
	s_nop 2                                                    // 00000000A894: BF800002
	v_mov_b32_e32 v213, v44                                    // 00000000A898: 7FAA032C
	v_max3_f32 v213, v44, v45, v213                            // 00000000A89C: D1D300D5 07565B2C
	v_max3_f32 v213, v46, v47, v213                            // 00000000A8A4: D1D300D5 07565F2E
	v_max3_f32 v213, v48, v49, v213                            // 00000000A8AC: D1D300D5 07566330
	v_max3_f32 v213, v50, v51, v213                            // 00000000A8B4: D1D300D5 07566732
	v_max3_f32 v213, v52, v53, v213                            // 00000000A8BC: D1D300D5 07566B34
	v_max3_f32 v213, v54, v55, v213                            // 00000000A8C4: D1D300D5 07566F36
	v_max3_f32 v213, v56, v57, v213                            // 00000000A8CC: D1D300D5 07567338
	v_max3_f32 v213, v58, v59, v213                            // 00000000A8D4: D1D300D5 0756773A
	v_mov_b32_e32 v35, v213                                    // 00000000A8DC: 7E4603D5
	v_mov_b32_e32 v36, v213                                    // 00000000A8E0: 7E4803D5
	s_nop 1                                                    // 00000000A8E4: BF800001
	v_permlane32_swap_b32_e32 v35, v36                         // 00000000A8E8: 7E46B524
	v_max3_f32 v213, v35, v36, v213                            // 00000000A8EC: D1D300D5 07564923
	ds_write_b32 v41, v213                                     // 00000000A8F4: D81A0000 0000D529
	s_waitcnt lgkmcnt(0)                                       // 00000000A8FC: BF8CC07F
	s_barrier                                                  // 00000000A900: BF8A0000
	ds_read_b32 v35, v40                                       // 00000000A904: D86C0000 23000028
	ds_read_b32 v36, v40 offset:256                            // 00000000A90C: D86C0100 24000028
	s_waitcnt lgkmcnt(0)                                       // 00000000A914: BF8CC07F
	v_max3_f32 v213, v35, v36, v213                            // 00000000A918: D1D300D5 07564923
	v_mov_b32_e32 v35, 0xff800000                              // 00000000A920: 7E4602FF FF800000
	v_cmp_eq_u32_e64 s[36:37], v35, v2                         // 00000000A928: D0CA0024 00020523
	v_max_f32_e32 v216, v213, v2                               // 00000000A930: 17B005D5
	v_sub_f32_e32 v21, v2, v216                                // 00000000A934: 042BB102
	v_cndmask_b32_e64 v21, v21, 0, s[36:37]                    // 00000000A938: D1000015 00910115
	v_mov_b32_e32 v2, v216                                     // 00000000A940: 7E0403D8
	v_mul_f32_e32 v212, s5, v216                               // 00000000A944: 0BA9B005
	v_mul_f32_e32 v21, s5, v21                                 // 00000000A948: 0A2A2A05
	v_exp_f32_e32 v21, v21                                     // 00000000A94C: 7E2A4115
	v_fma_f32 v44, v44, s5, -v212                              // 00000000A950: D1CB002C 87500B2C
	v_fma_f32 v45, v45, s5, -v212                              // 00000000A958: D1CB002D 87500B2D
	v_fma_f32 v46, v46, s5, -v212                              // 00000000A960: D1CB002E 87500B2E
	v_fma_f32 v47, v47, s5, -v212                              // 00000000A968: D1CB002F 87500B2F
	v_fma_f32 v48, v48, s5, -v212                              // 00000000A970: D1CB0030 87500B30
	v_fma_f32 v49, v49, s5, -v212                              // 00000000A978: D1CB0031 87500B31
	v_fma_f32 v50, v50, s5, -v212                              // 00000000A980: D1CB0032 87500B32
	v_fma_f32 v51, v51, s5, -v212                              // 00000000A988: D1CB0033 87500B33
	v_fma_f32 v52, v52, s5, -v212                              // 00000000A990: D1CB0034 87500B34
	v_fma_f32 v53, v53, s5, -v212                              // 00000000A998: D1CB0035 87500B35
	v_fma_f32 v54, v54, s5, -v212                              // 00000000A9A0: D1CB0036 87500B36
	v_fma_f32 v55, v55, s5, -v212                              // 00000000A9A8: D1CB0037 87500B37
	v_fma_f32 v56, v56, s5, -v212                              // 00000000A9B0: D1CB0038 87500B38
	v_fma_f32 v57, v57, s5, -v212                              // 00000000A9B8: D1CB0039 87500B39
	v_fma_f32 v58, v58, s5, -v212                              // 00000000A9C0: D1CB003A 87500B3A
	v_fma_f32 v59, v59, s5, -v212                              // 00000000A9C8: D1CB003B 87500B3B
	v_mov_b32_e32 v35, 0xffc00000                              // 00000000A9D0: 7E4602FF FFC00000
	v_exp_f32_e32 v44, v44                                     // 00000000A9D8: 7E58412C
	v_exp_f32_e32 v45, v45                                     // 00000000A9DC: 7E5A412D
	v_exp_f32_e32 v46, v46                                     // 00000000A9E0: 7E5C412E
	v_exp_f32_e32 v47, v47                                     // 00000000A9E4: 7E5E412F
	v_exp_f32_e32 v48, v48                                     // 00000000A9E8: 7E604130
	v_exp_f32_e32 v49, v49                                     // 00000000A9EC: 7E624131
	v_exp_f32_e32 v50, v50                                     // 00000000A9F0: 7E644132
	v_exp_f32_e32 v51, v51                                     // 00000000A9F4: 7E664133
	v_exp_f32_e32 v52, v52                                     // 00000000A9F8: 7E684134
	v_exp_f32_e32 v53, v53                                     // 00000000A9FC: 7E6A4135
	v_exp_f32_e32 v54, v54                                     // 00000000AA00: 7E6C4136
	v_exp_f32_e32 v55, v55                                     // 00000000AA04: 7E6E4137
	v_exp_f32_e32 v56, v56                                     // 00000000AA08: 7E704138
	v_exp_f32_e32 v57, v57                                     // 00000000AA0C: 7E724139
	v_exp_f32_e32 v58, v58                                     // 00000000AA10: 7E74413A
	v_exp_f32_e32 v59, v59                                     // 00000000AA14: 7E76413B
	v_mul_f32_e32 v4, v21, v4                                  // 00000000AA18: 0A080915
	v_mov_b32_e32 v35, v44                                     // 00000000AA1C: 7E46032C
	v_add_f32_e32 v35, v45, v35                                // 00000000AA20: 0246472D
	v_add_f32_e32 v35, v46, v35                                // 00000000AA24: 0246472E
	v_add_f32_e32 v35, v47, v35                                // 00000000AA28: 0246472F
	v_add_f32_e32 v35, v48, v35                                // 00000000AA2C: 02464730
	v_add_f32_e32 v35, v49, v35                                // 00000000AA30: 02464731
	v_add_f32_e32 v35, v50, v35                                // 00000000AA34: 02464732
	v_add_f32_e32 v35, v51, v35                                // 00000000AA38: 02464733
	v_add_f32_e32 v35, v52, v35                                // 00000000AA3C: 02464734
	v_add_f32_e32 v35, v53, v35                                // 00000000AA40: 02464735
	v_add_f32_e32 v35, v54, v35                                // 00000000AA44: 02464736
	v_add_f32_e32 v35, v55, v35                                // 00000000AA48: 02464737
	v_add_f32_e32 v35, v56, v35                                // 00000000AA4C: 02464738
	v_add_f32_e32 v35, v57, v35                                // 00000000AA50: 02464739
	v_add_f32_e32 v35, v58, v35                                // 00000000AA54: 0246473A
	v_add_f32_e32 v35, v59, v35                                // 00000000AA58: 0246473B
	v_add_f32_e32 v4, v35, v4                                  // 00000000AA5C: 02080923
	v_cvt_pk_fp8_f32 v44, v44, v45                             // 00000000AA60: D2A2002C 00025B2C
	v_cvt_pk_fp8_f32 v44, v46, v47 op_sel:[0,0,1]              // 00000000AA68: D2A2402C 00025F2E
	v_cvt_pk_fp8_f32 v45, v48, v49                             // 00000000AA70: D2A2002D 00026330
	v_cvt_pk_fp8_f32 v45, v50, v51 op_sel:[0,0,1]              // 00000000AA78: D2A2402D 00026732
	v_cvt_pk_fp8_f32 v46, v52, v53                             // 00000000AA80: D2A2002E 00026B34
	v_cvt_pk_fp8_f32 v46, v54, v55 op_sel:[0,0,1]              // 00000000AA88: D2A2402E 00026F36
	v_cvt_pk_fp8_f32 v47, v56, v57                             // 00000000AA90: D2A2002F 00027338
	v_cvt_pk_fp8_f32 v47, v58, v59 op_sel:[0,0,1]              // 00000000AA98: D2A2402F 0002773A
	ds_write_b128 v43, v[44:47] offset:1024                    // 00000000AAA0: D9BE0400 00002C2B
	s_waitcnt lgkmcnt(0)                                       // 00000000AAA8: BF8CC07F
	s_barrier                                                  // 00000000AAAC: BF8A0000
	ds_read_b128 v[44:47], v42 offset:1024                     // 00000000AAB0: D9FE0400 2C00002A
	ds_read_b128 v[48:51], v42 offset:2048                     // 00000000AAB8: D9FE0800 3000002A
	s_waitcnt lgkmcnt(0)                                       // 00000000AAC0: BF8CC07F
	v_permlane32_swap_b32_e32 v44, v46                         // 00000000AAC4: 7E58B52E
	v_permlane32_swap_b32_e32 v45, v47                         // 00000000AAC8: 7E5AB52F
	v_swap_b32 v45, v46                                        // 00000000AACC: 7E5AA32E
	v_permlane32_swap_b32_e32 v48, v50                         // 00000000AAD0: 7E60B532
	v_permlane32_swap_b32_e32 v49, v51                         // 00000000AAD4: 7E62B533
	v_swap_b32 v49, v50                                        // 00000000AAD8: 7E62A332
	v_mov_b32_e32 v36, v21                                     // 00000000AADC: 7E480315
	v_mov_b32_e32 v37, v21                                     // 00000000AAE0: 7E4A0315
	v_pk_mul_f32 v[76:77], v[36:37], v[76:77]                  // 00000000AAE4: D3B1404C 18029924
	v_pk_mul_f32 v[78:79], v[36:37], v[78:79]                  // 00000000AAEC: D3B1404E 18029D24
	v_pk_mul_f32 v[80:81], v[36:37], v[80:81]                  // 00000000AAF4: D3B14050 1802A124
	v_pk_mul_f32 v[82:83], v[36:37], v[82:83]                  // 00000000AAFC: D3B14052 1802A524
	v_pk_mul_f32 v[84:85], v[36:37], v[84:85]                  // 00000000AB04: D3B14054 1802A924
	v_pk_mul_f32 v[86:87], v[36:37], v[86:87]                  // 00000000AB0C: D3B14056 1802AD24
	v_pk_mul_f32 v[88:89], v[36:37], v[88:89]                  // 00000000AB14: D3B14058 1802B124
	v_pk_mul_f32 v[90:91], v[36:37], v[90:91]                  // 00000000AB1C: D3B1405A 1802B524
	v_pk_mul_f32 v[92:93], v[36:37], v[92:93]                  // 00000000AB24: D3B1405C 1802B924
	v_pk_mul_f32 v[94:95], v[36:37], v[94:95]                  // 00000000AB2C: D3B1405E 1802BD24
	v_pk_mul_f32 v[96:97], v[36:37], v[96:97]                  // 00000000AB34: D3B14060 1802C124
	v_pk_mul_f32 v[98:99], v[36:37], v[98:99]                  // 00000000AB3C: D3B14062 1802C524
	v_pk_mul_f32 v[100:101], v[36:37], v[100:101]              // 00000000AB44: D3B14064 1802C924
	v_pk_mul_f32 v[102:103], v[36:37], v[102:103]              // 00000000AB4C: D3B14066 1802CD24
	v_pk_mul_f32 v[104:105], v[36:37], v[104:105]              // 00000000AB54: D3B14068 1802D124
	v_pk_mul_f32 v[106:107], v[36:37], v[106:107]              // 00000000AB5C: D3B1406A 1802D524
	v_pk_mul_f32 v[108:109], v[36:37], v[108:109]              // 00000000AB64: D3B1406C 1802D924
	v_pk_mul_f32 v[110:111], v[36:37], v[110:111]              // 00000000AB6C: D3B1406E 1802DD24
	v_pk_mul_f32 v[112:113], v[36:37], v[112:113]              // 00000000AB74: D3B14070 1802E124
	v_pk_mul_f32 v[114:115], v[36:37], v[114:115]              // 00000000AB7C: D3B14072 1802E524
	v_pk_mul_f32 v[116:117], v[36:37], v[116:117]              // 00000000AB84: D3B14074 1802E924
	v_pk_mul_f32 v[118:119], v[36:37], v[118:119]              // 00000000AB8C: D3B14076 1802ED24
	v_pk_mul_f32 v[120:121], v[36:37], v[120:121]              // 00000000AB94: D3B14078 1802F124
	v_pk_mul_f32 v[122:123], v[36:37], v[122:123]              // 00000000AB9C: D3B1407A 1802F524
	v_pk_mul_f32 v[124:125], v[36:37], v[124:125]              // 00000000ABA4: D3B1407C 1802F924
	v_pk_mul_f32 v[126:127], v[36:37], v[126:127]              // 00000000ABAC: D3B1407E 1802FD24
	v_pk_mul_f32 v[128:129], v[36:37], v[128:129]              // 00000000ABB4: D3B14080 18030124
	v_pk_mul_f32 v[130:131], v[36:37], v[130:131]              // 00000000ABBC: D3B14082 18030524
	v_pk_mul_f32 v[132:133], v[36:37], v[132:133]              // 00000000ABC4: D3B14084 18030924
	v_pk_mul_f32 v[134:135], v[36:37], v[134:135]              // 00000000ABCC: D3B14086 18030D24
	v_pk_mul_f32 v[136:137], v[36:37], v[136:137]              // 00000000ABD4: D3B14088 18031124
	v_pk_mul_f32 v[138:139], v[36:37], v[138:139]              // 00000000ABDC: D3B1408A 18031524
	v_pk_mul_f32 v[140:141], v[36:37], v[140:141]              // 00000000ABE4: D3B1408C 18031924
	v_pk_mul_f32 v[142:143], v[36:37], v[142:143]              // 00000000ABEC: D3B1408E 18031D24
	v_pk_mul_f32 v[144:145], v[36:37], v[144:145]              // 00000000ABF4: D3B14090 18032124
	v_pk_mul_f32 v[146:147], v[36:37], v[146:147]              // 00000000ABFC: D3B14092 18032524
	v_pk_mul_f32 v[148:149], v[36:37], v[148:149]              // 00000000AC04: D3B14094 18032924
	v_pk_mul_f32 v[150:151], v[36:37], v[150:151]              // 00000000AC0C: D3B14096 18032D24
	v_pk_mul_f32 v[152:153], v[36:37], v[152:153]              // 00000000AC14: D3B14098 18033124
	v_pk_mul_f32 v[154:155], v[36:37], v[154:155]              // 00000000AC1C: D3B1409A 18033524
	v_pk_mul_f32 v[156:157], v[36:37], v[156:157]              // 00000000AC24: D3B1409C 18033924
	v_pk_mul_f32 v[158:159], v[36:37], v[158:159]              // 00000000AC2C: D3B1409E 18033D24
	v_pk_mul_f32 v[160:161], v[36:37], v[160:161]              // 00000000AC34: D3B140A0 18034124
	v_pk_mul_f32 v[162:163], v[36:37], v[162:163]              // 00000000AC3C: D3B140A2 18034524
	v_pk_mul_f32 v[164:165], v[36:37], v[164:165]              // 00000000AC44: D3B140A4 18034924
	v_pk_mul_f32 v[166:167], v[36:37], v[166:167]              // 00000000AC4C: D3B140A6 18034D24
	v_pk_mul_f32 v[168:169], v[36:37], v[168:169]              // 00000000AC54: D3B140A8 18035124
	v_pk_mul_f32 v[170:171], v[36:37], v[170:171]              // 00000000AC5C: D3B140AA 18035524
	v_pk_mul_f32 v[172:173], v[36:37], v[172:173]              // 00000000AC64: D3B140AC 18035924
	v_pk_mul_f32 v[174:175], v[36:37], v[174:175]              // 00000000AC6C: D3B140AE 18035D24
	v_pk_mul_f32 v[176:177], v[36:37], v[176:177]              // 00000000AC74: D3B140B0 18036124
	v_pk_mul_f32 v[178:179], v[36:37], v[178:179]              // 00000000AC7C: D3B140B2 18036524
	v_pk_mul_f32 v[180:181], v[36:37], v[180:181]              // 00000000AC84: D3B140B4 18036924
	v_pk_mul_f32 v[182:183], v[36:37], v[182:183]              // 00000000AC8C: D3B140B6 18036D24
	v_pk_mul_f32 v[184:185], v[36:37], v[184:185]              // 00000000AC94: D3B140B8 18037124
	v_pk_mul_f32 v[186:187], v[36:37], v[186:187]              // 00000000AC9C: D3B140BA 18037524
	v_pk_mul_f32 v[188:189], v[36:37], v[188:189]              // 00000000ACA4: D3B140BC 18037924
	v_pk_mul_f32 v[190:191], v[36:37], v[190:191]              // 00000000ACAC: D3B140BE 18037D24
	v_pk_mul_f32 v[192:193], v[36:37], v[192:193]              // 00000000ACB4: D3B140C0 18038124
	v_pk_mul_f32 v[194:195], v[36:37], v[194:195]              // 00000000ACBC: D3B140C2 18038524
	v_pk_mul_f32 v[196:197], v[36:37], v[196:197]              // 00000000ACC4: D3B140C4 18038924
	v_pk_mul_f32 v[198:199], v[36:37], v[198:199]              // 00000000ACCC: D3B140C6 18038D24
	v_pk_mul_f32 v[200:201], v[36:37], v[200:201]              // 00000000ACD4: D3B140C8 18039124
	v_pk_mul_f32 v[202:203], v[36:37], v[202:203]              // 00000000ACDC: D3B140CA 18039524
	v_mfma_f32_32x32x64_f8f6f4 v[76:91], a[72:79], v[44:51], v[76:91]// 00000000ACE4: D3AE004C 0D325948
	v_mfma_f32_32x32x64_f8f6f4 v[92:107], a[80:87], v[44:51], v[92:107]// 00000000ACEC: D3AE005C 0D725950
	v_mfma_f32_32x32x64_f8f6f4 v[108:123], a[88:95], v[44:51], v[108:123]// 00000000ACF4: D3AE006C 0DB25958
	v_mfma_f32_32x32x64_f8f6f4 v[124:139], a[96:103], v[44:51], v[124:139]// 00000000ACFC: D3AE007C 0DF25960
	v_mfma_f32_32x32x64_f8f6f4 v[140:155], a[104:111], v[44:51], v[140:155]// 00000000AD04: D3AE008C 0E325968
	v_mfma_f32_32x32x64_f8f6f4 v[156:171], a[112:119], v[44:51], v[156:171]// 00000000AD0C: D3AE009C 0E725970
	v_mfma_f32_32x32x64_f8f6f4 v[172:187], a[120:127], v[44:51], v[172:187]// 00000000AD14: D3AE00AC 0EB25978
	v_mfma_f32_32x32x64_f8f6f4 v[188:203], a[128:135], v[44:51], v[188:203]// 00000000AD1C: D3AE00BC 0EF25980
	s_nop 8                                                    // 00000000AD24: BF800008
	s_branch label_9C3C                                        // 00000000AD28: BF8204C4

000000000000ad2c <label_892C>:
	s_waitcnt lgkmcnt(4)                                       // 00000000AD2C: BF8CC47F
	v_mfma_f32_32x32x64_f8f6f4 v[60:75], a[72:79], a[0:7], 0   // 00000000AD30: D3AE003C 1A020148
	v_mfma_f32_32x32x64_f8f6f4 v[60:75], a[80:87], a[8:15], v[60:75]// 00000000AD38: D3AE003C 1CF21150
	v_mfma_f32_32x32x64_f8f6f4 v[60:75], a[88:95], a[16:23], v[60:75]// 00000000AD40: D3AE003C 1CF22158
	ds_read_b64_tr_b8 a[72:73], v5                             // 00000000AD48: DBC40000 48000005
	ds_read_b64_tr_b8 a[74:75], v6                             // 00000000AD50: DBC40000 4A000006
	ds_read_b64_tr_b8 a[76:77], v5 offset:18432                // 00000000AD58: DBC44800 4C000005
	ds_read_b64_tr_b8 a[78:79], v6 offset:18432                // 00000000AD60: DBC44800 4E000006
	v_mfma_f32_32x32x64_f8f6f4 v[60:75], a[96:103], a[24:31], v[60:75]// 00000000AD68: D3AE003C 1CF23160
	ds_read_b64_tr_b8 a[80:81], v7                             // 00000000AD70: DBC40000 50000007
	ds_read_b64_tr_b8 a[82:83], v8                             // 00000000AD78: DBC40000 52000008
	ds_read_b64_tr_b8 a[84:85], v7 offset:18432                // 00000000AD80: DBC44800 54000007
	ds_read_b64_tr_b8 a[86:87], v8 offset:18432                // 00000000AD88: DBC44800 56000008
	v_mfma_f32_32x32x64_f8f6f4 v[60:75], a[104:111], a[32:39], v[60:75]// 00000000AD90: D3AE003C 1CF24168
	ds_read_b64_tr_b8 a[88:89], v5 offset:1024                 // 00000000AD98: DBC40400 58000005
	ds_read_b64_tr_b8 a[90:91], v6 offset:1024                 // 00000000ADA0: DBC40400 5A000006
	ds_read_b64_tr_b8 a[92:93], v5 offset:19456                // 00000000ADA8: DBC44C00 5C000005
	ds_read_b64_tr_b8 a[94:95], v6 offset:19456                // 00000000ADB0: DBC44C00 5E000006
	v_mfma_f32_32x32x64_f8f6f4 v[60:75], a[112:119], a[40:47], v[60:75]// 00000000ADB8: D3AE003C 1CF25170
	ds_read_b64_tr_b8 a[96:97], v7 offset:1024                 // 00000000ADC0: DBC40400 60000007
	ds_read_b64_tr_b8 a[98:99], v8 offset:1024                 // 00000000ADC8: DBC40400 62000008
	ds_read_b64_tr_b8 a[100:101], v7 offset:19456              // 00000000ADD0: DBC44C00 64000007
	ds_read_b64_tr_b8 a[102:103], v8 offset:19456              // 00000000ADD8: DBC44C00 66000008
	v_mfma_f32_32x32x64_f8f6f4 v[60:75], a[120:127], a[48:55], v[60:75]// 00000000ADE0: D3AE003C 1CF26178
	ds_read_b64_tr_b8 a[104:105], v5 offset:2048               // 00000000ADE8: DBC40800 68000005
	ds_read_b64_tr_b8 a[106:107], v6 offset:2048               // 00000000ADF0: DBC40800 6A000006
	ds_read_b64_tr_b8 a[108:109], v5 offset:20480              // 00000000ADF8: DBC45000 6C000005
	ds_read_b64_tr_b8 a[110:111], v6 offset:20480              // 00000000AE00: DBC45000 6E000006
	v_mfma_f32_32x32x64_f8f6f4 v[60:75], a[128:135], a[56:63], v[60:75]// 00000000AE08: D3AE003C 1CF27180
	ds_read_b64_tr_b8 a[112:113], v7 offset:2048               // 00000000AE10: DBC40800 70000007
	ds_read_b64_tr_b8 a[114:115], v8 offset:2048               // 00000000AE18: DBC40800 72000008
	ds_read_b64_tr_b8 a[116:117], v7 offset:20480              // 00000000AE20: DBC45000 74000007
	ds_read_b64_tr_b8 a[118:119], v8 offset:20480              // 00000000AE28: DBC45000 76000008
	v_mfma_f32_32x32x64_f8f6f4 v[60:75], a[136:143], a[64:71], v[60:75]// 00000000AE30: D3AE003C 1CF28188
	ds_read_b64_tr_b8 a[120:121], v5 offset:3072               // 00000000AE38: DBC40C00 78000005
	ds_read_b64_tr_b8 a[122:123], v6 offset:3072               // 00000000AE40: DBC40C00 7A000006
	ds_read_b64_tr_b8 a[124:125], v5 offset:21504              // 00000000AE48: DBC45400 7C000005
	ds_read_b64_tr_b8 a[126:127], v6 offset:21504              // 00000000AE50: DBC45400 7E000006
	ds_read_b64_tr_b8 a[128:129], v7 offset:3072               // 00000000AE58: DBC40C00 80000007
	ds_read_b64_tr_b8 a[130:131], v8 offset:3072               // 00000000AE60: DBC40C00 82000008
	ds_read_b64_tr_b8 a[132:133], v7 offset:21504              // 00000000AE68: DBC45400 84000007
	ds_read_b64_tr_b8 a[134:135], v8 offset:21504              // 00000000AE70: DBC45400 86000008
	s_cmp_le_i32 s83, s82                                      // 00000000AE78: BF055253
	s_cbranch_scc1 label_8C64                                  // 00000000AE7C: BF850079
	s_mov_b32 s36, 0xffff0000                                  // 00000000AE80: BEA400FF FFFF0000
	s_mov_b32 s37, 0xffff0000                                  // 00000000AE88: BEA500FF FFFF0000
	v_mov_b32_e32 v36, s82                                     // 00000000AE90: 7E480252
	s_add_i32 s56, s82, 1                                      // 00000000AE94: 81388152
	v_mov_b32_e32 v37, s56                                     // 00000000AE98: 7E4A0238
	v_cndmask_b32_e64 v35, v36, v37, s[36:37]                  // 00000000AE9C: D1000023 00924B24
	s_and_b32 s56, 2, s7                                       // 00000000AEA4: 86380782
	v_add_i32 v35, s56, v35                                    // 00000000AEA8: D29C0023 00024638
	s_sub_u32 s56, s83, 64                                     // 00000000AEB0: 80B8C053
	v_lshrrev_b32_e32 v204, 5, v0                              // 00000000AEB4: 21980085
	v_mul_i32_i24_e32 v204, 4, v204                            // 00000000AEB8: 0D999884
	v_add_u32_e32 v204, s56, v204                              // 00000000AEBC: 69999838
	s_and_b32 s56, s7, 1                                       // 00000000AEC0: 86388107
	s_mov_b32 s57, 32                                          // 00000000AEC4: BEB900A0
	s_mul_i32 s56, s57, s56                                    // 00000000AEC8: 92383839
	v_add_u32_e32 v204, s56, v204                              // 00000000AECC: 69999838
	v_add_u32_e32 v205, 1, v204                                // 00000000AED0: 699B9881
	v_add_u32_e32 v206, 2, v204                                // 00000000AED4: 699D9882
	v_add_u32_e32 v207, 3, v204                                // 00000000AED8: 699F9883
	v_mov_b32_e32 v37, 0xff800000                              // 00000000AEDC: 7E4A02FF FF800000
	v_cmp_le_i32_e64 s[36:37], v204, v35                       // 00000000AEE4: D0C30024 000247CC
	s_nop 0                                                    // 00000000AEEC: BF800000
	v_cndmask_b32_e64 v60, v37, v60, s[36:37]                  // 00000000AEF0: D100003C 00927925
	v_add_u32_e32 v204, 8, v204                                // 00000000AEF8: 69999888
	v_cmp_le_i32_e64 s[36:37], v205, v35                       // 00000000AEFC: D0C30024 000247CD
	s_nop 0                                                    // 00000000AF04: BF800000
	v_cndmask_b32_e64 v61, v37, v61, s[36:37]                  // 00000000AF08: D100003D 00927B25
	v_add_u32_e32 v205, 8, v205                                // 00000000AF10: 699B9A88
	v_cmp_le_i32_e64 s[36:37], v206, v35                       // 00000000AF14: D0C30024 000247CE
	s_nop 0                                                    // 00000000AF1C: BF800000
	v_cndmask_b32_e64 v62, v37, v62, s[36:37]                  // 00000000AF20: D100003E 00927D25
	v_add_u32_e32 v206, 8, v206                                // 00000000AF28: 699D9C88
	v_cmp_le_i32_e64 s[36:37], v207, v35                       // 00000000AF2C: D0C30024 000247CF
	s_nop 0                                                    // 00000000AF34: BF800000
	v_cndmask_b32_e64 v63, v37, v63, s[36:37]                  // 00000000AF38: D100003F 00927F25
	v_add_u32_e32 v207, 8, v207                                // 00000000AF40: 699F9E88
	v_cmp_le_i32_e64 s[36:37], v204, v35                       // 00000000AF44: D0C30024 000247CC
	s_nop 0                                                    // 00000000AF4C: BF800000
	v_cndmask_b32_e64 v64, v37, v64, s[36:37]                  // 00000000AF50: D1000040 00928125
	v_add_u32_e32 v204, 8, v204                                // 00000000AF58: 69999888
	v_cmp_le_i32_e64 s[36:37], v205, v35                       // 00000000AF5C: D0C30024 000247CD
	s_nop 0                                                    // 00000000AF64: BF800000
	v_cndmask_b32_e64 v65, v37, v65, s[36:37]                  // 00000000AF68: D1000041 00928325
	v_add_u32_e32 v205, 8, v205                                // 00000000AF70: 699B9A88
	v_cmp_le_i32_e64 s[36:37], v206, v35                       // 00000000AF74: D0C30024 000247CE
	s_nop 0                                                    // 00000000AF7C: BF800000
	v_cndmask_b32_e64 v66, v37, v66, s[36:37]                  // 00000000AF80: D1000042 00928525
	v_add_u32_e32 v206, 8, v206                                // 00000000AF88: 699D9C88
	v_cmp_le_i32_e64 s[36:37], v207, v35                       // 00000000AF8C: D0C30024 000247CF
	s_nop 0                                                    // 00000000AF94: BF800000
	v_cndmask_b32_e64 v67, v37, v67, s[36:37]                  // 00000000AF98: D1000043 00928725
	v_add_u32_e32 v207, 8, v207                                // 00000000AFA0: 699F9E88
	v_cmp_le_i32_e64 s[36:37], v204, v35                       // 00000000AFA4: D0C30024 000247CC
	s_nop 0                                                    // 00000000AFAC: BF800000
	v_cndmask_b32_e64 v68, v37, v68, s[36:37]                  // 00000000AFB0: D1000044 00928925
	v_add_u32_e32 v204, 8, v204                                // 00000000AFB8: 69999888
	v_cmp_le_i32_e64 s[36:37], v205, v35                       // 00000000AFBC: D0C30024 000247CD
	s_nop 0                                                    // 00000000AFC4: BF800000
	v_cndmask_b32_e64 v69, v37, v69, s[36:37]                  // 00000000AFC8: D1000045 00928B25
	v_add_u32_e32 v205, 8, v205                                // 00000000AFD0: 699B9A88
	v_cmp_le_i32_e64 s[36:37], v206, v35                       // 00000000AFD4: D0C30024 000247CE
	s_nop 0                                                    // 00000000AFDC: BF800000
	v_cndmask_b32_e64 v70, v37, v70, s[36:37]                  // 00000000AFE0: D1000046 00928D25
	v_add_u32_e32 v206, 8, v206                                // 00000000AFE8: 699D9C88
	v_cmp_le_i32_e64 s[36:37], v207, v35                       // 00000000AFEC: D0C30024 000247CF
	s_nop 0                                                    // 00000000AFF4: BF800000
	v_cndmask_b32_e64 v71, v37, v71, s[36:37]                  // 00000000AFF8: D1000047 00928F25
	v_add_u32_e32 v207, 8, v207                                // 00000000B000: 699F9E88
	v_cmp_le_i32_e64 s[36:37], v204, v35                       // 00000000B004: D0C30024 000247CC
	s_nop 0                                                    // 00000000B00C: BF800000
	v_cndmask_b32_e64 v72, v37, v72, s[36:37]                  // 00000000B010: D1000048 00929125
	v_add_u32_e32 v204, 8, v204                                // 00000000B018: 69999888
	v_cmp_le_i32_e64 s[36:37], v205, v35                       // 00000000B01C: D0C30024 000247CD
	s_nop 0                                                    // 00000000B024: BF800000
	v_cndmask_b32_e64 v73, v37, v73, s[36:37]                  // 00000000B028: D1000049 00929325
	v_add_u32_e32 v205, 8, v205                                // 00000000B030: 699B9A88
	v_cmp_le_i32_e64 s[36:37], v206, v35                       // 00000000B034: D0C30024 000247CE
	s_nop 0                                                    // 00000000B03C: BF800000
	v_cndmask_b32_e64 v74, v37, v74, s[36:37]                  // 00000000B040: D100004A 00929525
	v_add_u32_e32 v206, 8, v206                                // 00000000B048: 699D9C88
	v_cmp_le_i32_e64 s[36:37], v207, v35                       // 00000000B04C: D0C30024 000247CF
	s_nop 0                                                    // 00000000B054: BF800000
	v_cndmask_b32_e64 v75, v37, v75, s[36:37]                  // 00000000B058: D100004B 00929725
	v_add_u32_e32 v207, 8, v207                                // 00000000B060: 699F9E88

000000000000b064 <label_8C64>:
	s_and_b32 s56, s48, 0xff                                   // 00000000B064: 8638FF30 000000FF
	v_mov_b32_e32 v36, s56                                     // 00000000B06C: 7E480238
	v_lshrrev_b32_e32 v204, 5, v0                              // 00000000B070: 21980085
	v_mul_i32_i24_e32 v204, 4, v204                            // 00000000B074: 0D999884
	s_and_b32 s56, s7, 1                                       // 00000000B078: 86388107
	s_mov_b32 s57, 32                                          // 00000000B07C: BEB900A0
	s_mul_i32 s56, s57, s56                                    // 00000000B080: 92383839
	v_add_u32_e32 v204, s56, v204                              // 00000000B084: 69999838
	v_add_u32_e32 v205, 1, v204                                // 00000000B088: 699B9881
	v_add_u32_e32 v206, 2, v204                                // 00000000B08C: 699D9882
	v_add_u32_e32 v207, 3, v204                                // 00000000B090: 699F9883
	v_mov_b32_e32 v35, 0xff800000                              // 00000000B094: 7E4602FF FF800000
	v_cmp_lt_u32_e64 s[36:37], v204, v36                       // 00000000B09C: D0C90024 000249CC
	v_add_u32_e32 v204, 8, v204                                // 00000000B0A4: 69999888
	s_nop 0                                                    // 00000000B0A8: BF800000
	v_cndmask_b32_e64 v60, v35, v60, s[36:37]                  // 00000000B0AC: D100003C 00927923
	v_cmp_lt_u32_e64 s[36:37], v205, v36                       // 00000000B0B4: D0C90024 000249CD
	v_add_u32_e32 v205, 8, v205                                // 00000000B0BC: 699B9A88
	s_nop 0                                                    // 00000000B0C0: BF800000
	v_cndmask_b32_e64 v61, v35, v61, s[36:37]                  // 00000000B0C4: D100003D 00927B23
	v_cmp_lt_u32_e64 s[36:37], v206, v36                       // 00000000B0CC: D0C90024 000249CE
	v_add_u32_e32 v206, 8, v206                                // 00000000B0D4: 699D9C88
	s_nop 0                                                    // 00000000B0D8: BF800000
	v_cndmask_b32_e64 v62, v35, v62, s[36:37]                  // 00000000B0DC: D100003E 00927D23
	v_cmp_lt_u32_e64 s[36:37], v207, v36                       // 00000000B0E4: D0C90024 000249CF
	v_add_u32_e32 v207, 8, v207                                // 00000000B0EC: 699F9E88
	s_nop 0                                                    // 00000000B0F0: BF800000
	v_cndmask_b32_e64 v63, v35, v63, s[36:37]                  // 00000000B0F4: D100003F 00927F23
	v_cmp_lt_u32_e64 s[36:37], v204, v36                       // 00000000B0FC: D0C90024 000249CC
	v_add_u32_e32 v204, 8, v204                                // 00000000B104: 69999888
	s_nop 0                                                    // 00000000B108: BF800000
	v_cndmask_b32_e64 v64, v35, v64, s[36:37]                  // 00000000B10C: D1000040 00928123
	v_cmp_lt_u32_e64 s[36:37], v205, v36                       // 00000000B114: D0C90024 000249CD
	v_add_u32_e32 v205, 8, v205                                // 00000000B11C: 699B9A88
	s_nop 0                                                    // 00000000B120: BF800000
	v_cndmask_b32_e64 v65, v35, v65, s[36:37]                  // 00000000B124: D1000041 00928323
	v_cmp_lt_u32_e64 s[36:37], v206, v36                       // 00000000B12C: D0C90024 000249CE
	v_add_u32_e32 v206, 8, v206                                // 00000000B134: 699D9C88
	s_nop 0                                                    // 00000000B138: BF800000
	v_cndmask_b32_e64 v66, v35, v66, s[36:37]                  // 00000000B13C: D1000042 00928523
	v_cmp_lt_u32_e64 s[36:37], v207, v36                       // 00000000B144: D0C90024 000249CF
	v_add_u32_e32 v207, 8, v207                                // 00000000B14C: 699F9E88
	s_nop 0                                                    // 00000000B150: BF800000
	v_cndmask_b32_e64 v67, v35, v67, s[36:37]                  // 00000000B154: D1000043 00928723
	v_cmp_lt_u32_e64 s[36:37], v204, v36                       // 00000000B15C: D0C90024 000249CC
	v_add_u32_e32 v204, 8, v204                                // 00000000B164: 69999888
	s_nop 0                                                    // 00000000B168: BF800000
	v_cndmask_b32_e64 v68, v35, v68, s[36:37]                  // 00000000B16C: D1000044 00928923
	v_cmp_lt_u32_e64 s[36:37], v205, v36                       // 00000000B174: D0C90024 000249CD
	v_add_u32_e32 v205, 8, v205                                // 00000000B17C: 699B9A88
	s_nop 0                                                    // 00000000B180: BF800000
	v_cndmask_b32_e64 v69, v35, v69, s[36:37]                  // 00000000B184: D1000045 00928B23
	v_cmp_lt_u32_e64 s[36:37], v206, v36                       // 00000000B18C: D0C90024 000249CE
	v_add_u32_e32 v206, 8, v206                                // 00000000B194: 699D9C88
	s_nop 0                                                    // 00000000B198: BF800000
	v_cndmask_b32_e64 v70, v35, v70, s[36:37]                  // 00000000B19C: D1000046 00928D23
	v_cmp_lt_u32_e64 s[36:37], v207, v36                       // 00000000B1A4: D0C90024 000249CF
	v_add_u32_e32 v207, 8, v207                                // 00000000B1AC: 699F9E88
	s_nop 0                                                    // 00000000B1B0: BF800000
	v_cndmask_b32_e64 v71, v35, v71, s[36:37]                  // 00000000B1B4: D1000047 00928F23
	v_cmp_lt_u32_e64 s[36:37], v204, v36                       // 00000000B1BC: D0C90024 000249CC
	v_add_u32_e32 v204, 8, v204                                // 00000000B1C4: 69999888
	s_nop 0                                                    // 00000000B1C8: BF800000
	v_cndmask_b32_e64 v72, v35, v72, s[36:37]                  // 00000000B1CC: D1000048 00929123
	v_cmp_lt_u32_e64 s[36:37], v205, v36                       // 00000000B1D4: D0C90024 000249CD
	v_add_u32_e32 v205, 8, v205                                // 00000000B1DC: 699B9A88
	s_nop 0                                                    // 00000000B1E0: BF800000
	v_cndmask_b32_e64 v73, v35, v73, s[36:37]                  // 00000000B1E4: D1000049 00929323
	v_cmp_lt_u32_e64 s[36:37], v206, v36                       // 00000000B1EC: D0C90024 000249CE
	v_add_u32_e32 v206, 8, v206                                // 00000000B1F4: 699D9C88
	s_nop 0                                                    // 00000000B1F8: BF800000
	v_cndmask_b32_e64 v74, v35, v74, s[36:37]                  // 00000000B1FC: D100004A 00929523
	v_cmp_lt_u32_e64 s[36:37], v207, v36                       // 00000000B204: D0C90024 000249CF
	v_add_u32_e32 v207, 8, v207                                // 00000000B20C: 699F9E88
	s_nop 0                                                    // 00000000B210: BF800000
	v_cndmask_b32_e64 v75, v35, v75, s[36:37]                  // 00000000B214: D100004B 00929723
	s_nop 2                                                    // 00000000B21C: BF800002
	v_mov_b32_e32 v213, v60                                    // 00000000B220: 7FAA033C
	v_max3_f32 v213, v60, v61, v213                            // 00000000B224: D1D300D5 07567B3C
	v_max3_f32 v213, v62, v63, v213                            // 00000000B22C: D1D300D5 07567F3E
	v_max3_f32 v213, v64, v65, v213                            // 00000000B234: D1D300D5 07568340
	v_max3_f32 v213, v66, v67, v213                            // 00000000B23C: D1D300D5 07568742
	v_max3_f32 v213, v68, v69, v213                            // 00000000B244: D1D300D5 07568B44
	v_max3_f32 v213, v70, v71, v213                            // 00000000B24C: D1D300D5 07568F46
	v_max3_f32 v213, v72, v73, v213                            // 00000000B254: D1D300D5 07569348
	v_max3_f32 v213, v74, v75, v213                            // 00000000B25C: D1D300D5 0756974A
	v_mov_b32_e32 v35, v213                                    // 00000000B264: 7E4603D5
	v_mov_b32_e32 v36, v213                                    // 00000000B268: 7E4803D5
	s_nop 1                                                    // 00000000B26C: BF800001
	v_permlane32_swap_b32_e32 v35, v36                         // 00000000B270: 7E46B524
	v_max3_f32 v213, v35, v36, v213                            // 00000000B274: D1D300D5 07564923
	ds_write_b32 v41, v213                                     // 00000000B27C: D81A0000 0000D529
	s_waitcnt lgkmcnt(0)                                       // 00000000B284: BF8CC07F
	s_barrier                                                  // 00000000B288: BF8A0000
	ds_read_b32 v35, v40                                       // 00000000B28C: D86C0000 23000028
	ds_read_b32 v36, v40 offset:256                            // 00000000B294: D86C0100 24000028
	s_waitcnt lgkmcnt(0)                                       // 00000000B29C: BF8CC07F
	v_max3_f32 v213, v35, v36, v213                            // 00000000B2A0: D1D300D5 07564923
	v_mov_b32_e32 v35, 0xff800000                              // 00000000B2A8: 7E4602FF FF800000
	v_cmp_eq_u32_e64 s[36:37], v35, v2                         // 00000000B2B0: D0CA0024 00020523
	v_max_f32_e32 v216, v213, v2                               // 00000000B2B8: 17B005D5
	v_sub_f32_e32 v21, v2, v216                                // 00000000B2BC: 042BB102
	v_cndmask_b32_e64 v21, v21, 0, s[36:37]                    // 00000000B2C0: D1000015 00910115
	v_mov_b32_e32 v2, v216                                     // 00000000B2C8: 7E0403D8
	v_mul_f32_e32 v212, s5, v216                               // 00000000B2CC: 0BA9B005
	v_mul_f32_e32 v21, s5, v21                                 // 00000000B2D0: 0A2A2A05
	v_exp_f32_e32 v21, v21                                     // 00000000B2D4: 7E2A4115
	v_fma_f32 v60, v60, s5, -v212                              // 00000000B2D8: D1CB003C 87500B3C
	v_fma_f32 v61, v61, s5, -v212                              // 00000000B2E0: D1CB003D 87500B3D
	v_fma_f32 v62, v62, s5, -v212                              // 00000000B2E8: D1CB003E 87500B3E
	v_fma_f32 v63, v63, s5, -v212                              // 00000000B2F0: D1CB003F 87500B3F
	v_fma_f32 v64, v64, s5, -v212                              // 00000000B2F8: D1CB0040 87500B40
	v_fma_f32 v65, v65, s5, -v212                              // 00000000B300: D1CB0041 87500B41
	v_fma_f32 v66, v66, s5, -v212                              // 00000000B308: D1CB0042 87500B42
	v_fma_f32 v67, v67, s5, -v212                              // 00000000B310: D1CB0043 87500B43
	v_fma_f32 v68, v68, s5, -v212                              // 00000000B318: D1CB0044 87500B44
	v_fma_f32 v69, v69, s5, -v212                              // 00000000B320: D1CB0045 87500B45
	v_fma_f32 v70, v70, s5, -v212                              // 00000000B328: D1CB0046 87500B46
	v_fma_f32 v71, v71, s5, -v212                              // 00000000B330: D1CB0047 87500B47
	v_fma_f32 v72, v72, s5, -v212                              // 00000000B338: D1CB0048 87500B48
	v_fma_f32 v73, v73, s5, -v212                              // 00000000B340: D1CB0049 87500B49
	v_fma_f32 v74, v74, s5, -v212                              // 00000000B348: D1CB004A 87500B4A
	v_fma_f32 v75, v75, s5, -v212                              // 00000000B350: D1CB004B 87500B4B
	v_mov_b32_e32 v35, 0xffc00000                              // 00000000B358: 7E4602FF FFC00000
	v_exp_f32_e32 v60, v60                                     // 00000000B360: 7E78413C
	v_exp_f32_e32 v61, v61                                     // 00000000B364: 7E7A413D
	v_exp_f32_e32 v62, v62                                     // 00000000B368: 7E7C413E
	v_exp_f32_e32 v63, v63                                     // 00000000B36C: 7E7E413F
	v_exp_f32_e32 v64, v64                                     // 00000000B370: 7E804140
	v_exp_f32_e32 v65, v65                                     // 00000000B374: 7E824141
	v_exp_f32_e32 v66, v66                                     // 00000000B378: 7E844142
	v_exp_f32_e32 v67, v67                                     // 00000000B37C: 7E864143
	v_exp_f32_e32 v68, v68                                     // 00000000B380: 7E884144
	v_exp_f32_e32 v69, v69                                     // 00000000B384: 7E8A4145
	v_exp_f32_e32 v70, v70                                     // 00000000B388: 7E8C4146
	v_exp_f32_e32 v71, v71                                     // 00000000B38C: 7E8E4147
	v_exp_f32_e32 v72, v72                                     // 00000000B390: 7E904148
	v_exp_f32_e32 v73, v73                                     // 00000000B394: 7E924149
	v_exp_f32_e32 v74, v74                                     // 00000000B398: 7E94414A
	v_exp_f32_e32 v75, v75                                     // 00000000B39C: 7E96414B
	v_mul_f32_e32 v4, v21, v4                                  // 00000000B3A0: 0A080915
	v_mov_b32_e32 v35, v60                                     // 00000000B3A4: 7E46033C
	v_add_f32_e32 v35, v61, v35                                // 00000000B3A8: 0246473D
	v_add_f32_e32 v35, v62, v35                                // 00000000B3AC: 0246473E
	v_add_f32_e32 v35, v63, v35                                // 00000000B3B0: 0246473F
	v_add_f32_e32 v35, v64, v35                                // 00000000B3B4: 02464740
	v_add_f32_e32 v35, v65, v35                                // 00000000B3B8: 02464741
	v_add_f32_e32 v35, v66, v35                                // 00000000B3BC: 02464742
	v_add_f32_e32 v35, v67, v35                                // 00000000B3C0: 02464743
	v_add_f32_e32 v35, v68, v35                                // 00000000B3C4: 02464744
	v_add_f32_e32 v35, v69, v35                                // 00000000B3C8: 02464745
	v_add_f32_e32 v35, v70, v35                                // 00000000B3CC: 02464746
	v_add_f32_e32 v35, v71, v35                                // 00000000B3D0: 02464747
	v_add_f32_e32 v35, v72, v35                                // 00000000B3D4: 02464748
	v_add_f32_e32 v35, v73, v35                                // 00000000B3D8: 02464749
	v_add_f32_e32 v35, v74, v35                                // 00000000B3DC: 0246474A
	v_add_f32_e32 v35, v75, v35                                // 00000000B3E0: 0246474B
	v_add_f32_e32 v4, v35, v4                                  // 00000000B3E4: 02080923
	v_cvt_pk_fp8_f32 v60, v60, v61                             // 00000000B3E8: D2A2003C 00027B3C
	v_cvt_pk_fp8_f32 v60, v62, v63 op_sel:[0,0,1]              // 00000000B3F0: D2A2403C 00027F3E
	v_cvt_pk_fp8_f32 v61, v64, v65                             // 00000000B3F8: D2A2003D 00028340
	v_cvt_pk_fp8_f32 v61, v66, v67 op_sel:[0,0,1]              // 00000000B400: D2A2403D 00028742
	v_cvt_pk_fp8_f32 v62, v68, v69                             // 00000000B408: D2A2003E 00028B44
	v_cvt_pk_fp8_f32 v62, v70, v71 op_sel:[0,0,1]              // 00000000B410: D2A2403E 00028F46
	v_cvt_pk_fp8_f32 v63, v72, v73                             // 00000000B418: D2A2003F 00029348
	v_cvt_pk_fp8_f32 v63, v74, v75 op_sel:[0,0,1]              // 00000000B420: D2A2403F 0002974A
	ds_write_b128 v43, v[60:63] offset:1024                    // 00000000B428: D9BE0400 00003C2B
	s_waitcnt lgkmcnt(0)                                       // 00000000B430: BF8CC07F
	s_barrier                                                  // 00000000B434: BF8A0000
	ds_read_b128 v[60:63], v42 offset:1024                     // 00000000B438: D9FE0400 3C00002A
	ds_read_b128 v[64:67], v42 offset:2048                     // 00000000B440: D9FE0800 4000002A
	s_waitcnt lgkmcnt(0)                                       // 00000000B448: BF8CC07F
	v_permlane32_swap_b32_e32 v60, v62                         // 00000000B44C: 7E78B53E
	v_permlane32_swap_b32_e32 v61, v63                         // 00000000B450: 7E7AB53F
	v_swap_b32 v61, v62                                        // 00000000B454: 7E7AA33E
	v_permlane32_swap_b32_e32 v64, v66                         // 00000000B458: 7E80B542
	v_permlane32_swap_b32_e32 v65, v67                         // 00000000B45C: 7E82B543
	v_swap_b32 v65, v66                                        // 00000000B460: 7E82A342
	v_mov_b32_e32 v36, v21                                     // 00000000B464: 7E480315
	v_mov_b32_e32 v37, v21                                     // 00000000B468: 7E4A0315
	v_pk_mul_f32 v[76:77], v[36:37], v[76:77]                  // 00000000B46C: D3B1404C 18029924
	v_pk_mul_f32 v[78:79], v[36:37], v[78:79]                  // 00000000B474: D3B1404E 18029D24
	v_pk_mul_f32 v[80:81], v[36:37], v[80:81]                  // 00000000B47C: D3B14050 1802A124
	v_pk_mul_f32 v[82:83], v[36:37], v[82:83]                  // 00000000B484: D3B14052 1802A524
	v_pk_mul_f32 v[84:85], v[36:37], v[84:85]                  // 00000000B48C: D3B14054 1802A924
	v_pk_mul_f32 v[86:87], v[36:37], v[86:87]                  // 00000000B494: D3B14056 1802AD24
	v_pk_mul_f32 v[88:89], v[36:37], v[88:89]                  // 00000000B49C: D3B14058 1802B124
	v_pk_mul_f32 v[90:91], v[36:37], v[90:91]                  // 00000000B4A4: D3B1405A 1802B524
	v_pk_mul_f32 v[92:93], v[36:37], v[92:93]                  // 00000000B4AC: D3B1405C 1802B924
	v_pk_mul_f32 v[94:95], v[36:37], v[94:95]                  // 00000000B4B4: D3B1405E 1802BD24
	v_pk_mul_f32 v[96:97], v[36:37], v[96:97]                  // 00000000B4BC: D3B14060 1802C124
	v_pk_mul_f32 v[98:99], v[36:37], v[98:99]                  // 00000000B4C4: D3B14062 1802C524
	v_pk_mul_f32 v[100:101], v[36:37], v[100:101]              // 00000000B4CC: D3B14064 1802C924
	v_pk_mul_f32 v[102:103], v[36:37], v[102:103]              // 00000000B4D4: D3B14066 1802CD24
	v_pk_mul_f32 v[104:105], v[36:37], v[104:105]              // 00000000B4DC: D3B14068 1802D124
	v_pk_mul_f32 v[106:107], v[36:37], v[106:107]              // 00000000B4E4: D3B1406A 1802D524
	v_pk_mul_f32 v[108:109], v[36:37], v[108:109]              // 00000000B4EC: D3B1406C 1802D924
	v_pk_mul_f32 v[110:111], v[36:37], v[110:111]              // 00000000B4F4: D3B1406E 1802DD24
	v_pk_mul_f32 v[112:113], v[36:37], v[112:113]              // 00000000B4FC: D3B14070 1802E124
	v_pk_mul_f32 v[114:115], v[36:37], v[114:115]              // 00000000B504: D3B14072 1802E524
	v_pk_mul_f32 v[116:117], v[36:37], v[116:117]              // 00000000B50C: D3B14074 1802E924
	v_pk_mul_f32 v[118:119], v[36:37], v[118:119]              // 00000000B514: D3B14076 1802ED24
	v_pk_mul_f32 v[120:121], v[36:37], v[120:121]              // 00000000B51C: D3B14078 1802F124
	v_pk_mul_f32 v[122:123], v[36:37], v[122:123]              // 00000000B524: D3B1407A 1802F524
	v_pk_mul_f32 v[124:125], v[36:37], v[124:125]              // 00000000B52C: D3B1407C 1802F924
	v_pk_mul_f32 v[126:127], v[36:37], v[126:127]              // 00000000B534: D3B1407E 1802FD24
	v_pk_mul_f32 v[128:129], v[36:37], v[128:129]              // 00000000B53C: D3B14080 18030124
	v_pk_mul_f32 v[130:131], v[36:37], v[130:131]              // 00000000B544: D3B14082 18030524
	v_pk_mul_f32 v[132:133], v[36:37], v[132:133]              // 00000000B54C: D3B14084 18030924
	v_pk_mul_f32 v[134:135], v[36:37], v[134:135]              // 00000000B554: D3B14086 18030D24
	v_pk_mul_f32 v[136:137], v[36:37], v[136:137]              // 00000000B55C: D3B14088 18031124
	v_pk_mul_f32 v[138:139], v[36:37], v[138:139]              // 00000000B564: D3B1408A 18031524
	v_pk_mul_f32 v[140:141], v[36:37], v[140:141]              // 00000000B56C: D3B1408C 18031924
	v_pk_mul_f32 v[142:143], v[36:37], v[142:143]              // 00000000B574: D3B1408E 18031D24
	v_pk_mul_f32 v[144:145], v[36:37], v[144:145]              // 00000000B57C: D3B14090 18032124
	v_pk_mul_f32 v[146:147], v[36:37], v[146:147]              // 00000000B584: D3B14092 18032524
	v_pk_mul_f32 v[148:149], v[36:37], v[148:149]              // 00000000B58C: D3B14094 18032924
	v_pk_mul_f32 v[150:151], v[36:37], v[150:151]              // 00000000B594: D3B14096 18032D24
	v_pk_mul_f32 v[152:153], v[36:37], v[152:153]              // 00000000B59C: D3B14098 18033124
	v_pk_mul_f32 v[154:155], v[36:37], v[154:155]              // 00000000B5A4: D3B1409A 18033524
	v_pk_mul_f32 v[156:157], v[36:37], v[156:157]              // 00000000B5AC: D3B1409C 18033924
	v_pk_mul_f32 v[158:159], v[36:37], v[158:159]              // 00000000B5B4: D3B1409E 18033D24
	v_pk_mul_f32 v[160:161], v[36:37], v[160:161]              // 00000000B5BC: D3B140A0 18034124
	v_pk_mul_f32 v[162:163], v[36:37], v[162:163]              // 00000000B5C4: D3B140A2 18034524
	v_pk_mul_f32 v[164:165], v[36:37], v[164:165]              // 00000000B5CC: D3B140A4 18034924
	v_pk_mul_f32 v[166:167], v[36:37], v[166:167]              // 00000000B5D4: D3B140A6 18034D24
	v_pk_mul_f32 v[168:169], v[36:37], v[168:169]              // 00000000B5DC: D3B140A8 18035124
	v_pk_mul_f32 v[170:171], v[36:37], v[170:171]              // 00000000B5E4: D3B140AA 18035524
	v_pk_mul_f32 v[172:173], v[36:37], v[172:173]              // 00000000B5EC: D3B140AC 18035924
	v_pk_mul_f32 v[174:175], v[36:37], v[174:175]              // 00000000B5F4: D3B140AE 18035D24
	v_pk_mul_f32 v[176:177], v[36:37], v[176:177]              // 00000000B5FC: D3B140B0 18036124
	v_pk_mul_f32 v[178:179], v[36:37], v[178:179]              // 00000000B604: D3B140B2 18036524
	v_pk_mul_f32 v[180:181], v[36:37], v[180:181]              // 00000000B60C: D3B140B4 18036924
	v_pk_mul_f32 v[182:183], v[36:37], v[182:183]              // 00000000B614: D3B140B6 18036D24
	v_pk_mul_f32 v[184:185], v[36:37], v[184:185]              // 00000000B61C: D3B140B8 18037124
	v_pk_mul_f32 v[186:187], v[36:37], v[186:187]              // 00000000B624: D3B140BA 18037524
	v_pk_mul_f32 v[188:189], v[36:37], v[188:189]              // 00000000B62C: D3B140BC 18037924
	v_pk_mul_f32 v[190:191], v[36:37], v[190:191]              // 00000000B634: D3B140BE 18037D24
	v_pk_mul_f32 v[192:193], v[36:37], v[192:193]              // 00000000B63C: D3B140C0 18038124
	v_pk_mul_f32 v[194:195], v[36:37], v[194:195]              // 00000000B644: D3B140C2 18038524
	v_pk_mul_f32 v[196:197], v[36:37], v[196:197]              // 00000000B64C: D3B140C4 18038924
	v_pk_mul_f32 v[198:199], v[36:37], v[198:199]              // 00000000B654: D3B140C6 18038D24
	v_pk_mul_f32 v[200:201], v[36:37], v[200:201]              // 00000000B65C: D3B140C8 18039124
	v_pk_mul_f32 v[202:203], v[36:37], v[202:203]              // 00000000B664: D3B140CA 18039524
	v_mfma_f32_32x32x64_f8f6f4 v[76:91], a[72:79], v[60:67], v[76:91]// 00000000B66C: D3AE004C 0D327948
	v_mfma_f32_32x32x64_f8f6f4 v[92:107], a[80:87], v[60:67], v[92:107]// 00000000B674: D3AE005C 0D727950
	v_mfma_f32_32x32x64_f8f6f4 v[108:123], a[88:95], v[60:67], v[108:123]// 00000000B67C: D3AE006C 0DB27958
	v_mfma_f32_32x32x64_f8f6f4 v[124:139], a[96:103], v[60:67], v[124:139]// 00000000B684: D3AE007C 0DF27960
	v_mfma_f32_32x32x64_f8f6f4 v[140:155], a[104:111], v[60:67], v[140:155]// 00000000B68C: D3AE008C 0E327968
	v_mfma_f32_32x32x64_f8f6f4 v[156:171], a[112:119], v[60:67], v[156:171]// 00000000B694: D3AE009C 0E727970
	v_mfma_f32_32x32x64_f8f6f4 v[172:187], a[120:127], v[60:67], v[172:187]// 00000000B69C: D3AE00AC 0EB27978
	v_mfma_f32_32x32x64_f8f6f4 v[188:203], a[128:135], v[60:67], v[188:203]// 00000000B6A4: D3AE00BC 0EF27980
	s_nop 8                                                    // 00000000B6AC: BF800008
	s_branch label_9C3C                                        // 00000000B6B0: BF820262

000000000000b6b4 <label_92B4>:
	s_waitcnt lgkmcnt(4)                                       // 00000000B6B4: BF8CC47F
	v_mfma_f32_32x32x64_f8f6f4 v[44:59], a[72:79], a[0:7], 0   // 00000000B6B8: D3AE002C 1A020148
	v_mfma_f32_32x32x64_f8f6f4 v[44:59], a[80:87], a[8:15], v[44:59]// 00000000B6C0: D3AE002C 1CB21150
	v_mfma_f32_32x32x64_f8f6f4 v[44:59], a[88:95], a[16:23], v[44:59]// 00000000B6C8: D3AE002C 1CB22158
	ds_read_b64_tr_b8 a[72:73], v9                             // 00000000B6D0: DBC40000 48000009
	ds_read_b64_tr_b8 a[74:75], v10                            // 00000000B6D8: DBC40000 4A00000A
	ds_read_b64_tr_b8 a[76:77], v9 offset:18432                // 00000000B6E0: DBC44800 4C000009
	ds_read_b64_tr_b8 a[78:79], v10 offset:18432               // 00000000B6E8: DBC44800 4E00000A
	v_mfma_f32_32x32x64_f8f6f4 v[44:59], a[96:103], a[24:31], v[44:59]// 00000000B6F0: D3AE002C 1CB23160
	ds_read_b64_tr_b8 a[80:81], v11                            // 00000000B6F8: DBC40000 5000000B
	ds_read_b64_tr_b8 a[82:83], v12                            // 00000000B700: DBC40000 5200000C
	ds_read_b64_tr_b8 a[84:85], v11 offset:18432               // 00000000B708: DBC44800 5400000B
	ds_read_b64_tr_b8 a[86:87], v12 offset:18432               // 00000000B710: DBC44800 5600000C
	v_mfma_f32_32x32x64_f8f6f4 v[44:59], a[104:111], a[32:39], v[44:59]// 00000000B718: D3AE002C 1CB24168
	ds_read_b64_tr_b8 a[88:89], v9 offset:1024                 // 00000000B720: DBC40400 58000009
	ds_read_b64_tr_b8 a[90:91], v10 offset:1024                // 00000000B728: DBC40400 5A00000A
	ds_read_b64_tr_b8 a[92:93], v9 offset:19456                // 00000000B730: DBC44C00 5C000009
	ds_read_b64_tr_b8 a[94:95], v10 offset:19456               // 00000000B738: DBC44C00 5E00000A
	v_mfma_f32_32x32x64_f8f6f4 v[44:59], a[112:119], a[40:47], v[44:59]// 00000000B740: D3AE002C 1CB25170
	ds_read_b64_tr_b8 a[96:97], v11 offset:1024                // 00000000B748: DBC40400 6000000B
	ds_read_b64_tr_b8 a[98:99], v12 offset:1024                // 00000000B750: DBC40400 6200000C
	ds_read_b64_tr_b8 a[100:101], v11 offset:19456             // 00000000B758: DBC44C00 6400000B
	ds_read_b64_tr_b8 a[102:103], v12 offset:19456             // 00000000B760: DBC44C00 6600000C
	v_mfma_f32_32x32x64_f8f6f4 v[44:59], a[120:127], a[48:55], v[44:59]// 00000000B768: D3AE002C 1CB26178
	ds_read_b64_tr_b8 a[104:105], v9 offset:2048               // 00000000B770: DBC40800 68000009
	ds_read_b64_tr_b8 a[106:107], v10 offset:2048              // 00000000B778: DBC40800 6A00000A
	ds_read_b64_tr_b8 a[108:109], v9 offset:20480              // 00000000B780: DBC45000 6C000009
	ds_read_b64_tr_b8 a[110:111], v10 offset:20480             // 00000000B788: DBC45000 6E00000A
	v_mfma_f32_32x32x64_f8f6f4 v[44:59], a[128:135], a[56:63], v[44:59]// 00000000B790: D3AE002C 1CB27180
	ds_read_b64_tr_b8 a[112:113], v11 offset:2048              // 00000000B798: DBC40800 7000000B
	ds_read_b64_tr_b8 a[114:115], v12 offset:2048              // 00000000B7A0: DBC40800 7200000C
	ds_read_b64_tr_b8 a[116:117], v11 offset:20480             // 00000000B7A8: DBC45000 7400000B
	ds_read_b64_tr_b8 a[118:119], v12 offset:20480             // 00000000B7B0: DBC45000 7600000C
	v_mfma_f32_32x32x64_f8f6f4 v[44:59], a[136:143], a[64:71], v[44:59]// 00000000B7B8: D3AE002C 1CB28188
	ds_read_b64_tr_b8 a[120:121], v9 offset:3072               // 00000000B7C0: DBC40C00 78000009
	ds_read_b64_tr_b8 a[122:123], v10 offset:3072              // 00000000B7C8: DBC40C00 7A00000A
	ds_read_b64_tr_b8 a[124:125], v9 offset:21504              // 00000000B7D0: DBC45400 7C000009
	ds_read_b64_tr_b8 a[126:127], v10 offset:21504             // 00000000B7D8: DBC45400 7E00000A
	ds_read_b64_tr_b8 a[128:129], v11 offset:3072              // 00000000B7E0: DBC40C00 8000000B
	ds_read_b64_tr_b8 a[130:131], v12 offset:3072              // 00000000B7E8: DBC40C00 8200000C
	ds_read_b64_tr_b8 a[132:133], v11 offset:21504             // 00000000B7F0: DBC45400 8400000B
	ds_read_b64_tr_b8 a[134:135], v12 offset:21504             // 00000000B7F8: DBC45400 8600000C
	s_cmp_le_i32 s83, s82                                      // 00000000B800: BF055253
	s_cbranch_scc1 label_95EC                                  // 00000000B804: BF850079
	s_mov_b32 s36, 0xffff0000                                  // 00000000B808: BEA400FF FFFF0000
	s_mov_b32 s37, 0xffff0000                                  // 00000000B810: BEA500FF FFFF0000
	v_mov_b32_e32 v36, s82                                     // 00000000B818: 7E480252
	s_add_i32 s56, s82, 1                                      // 00000000B81C: 81388152
	v_mov_b32_e32 v37, s56                                     // 00000000B820: 7E4A0238
	v_cndmask_b32_e64 v35, v36, v37, s[36:37]                  // 00000000B824: D1000023 00924B24
	s_and_b32 s56, 2, s7                                       // 00000000B82C: 86380782
	v_add_i32 v35, s56, v35                                    // 00000000B830: D29C0023 00024638
	s_sub_u32 s56, s83, 64                                     // 00000000B838: 80B8C053
	v_lshrrev_b32_e32 v204, 5, v0                              // 00000000B83C: 21980085
	v_mul_i32_i24_e32 v204, 4, v204                            // 00000000B840: 0D999884
	v_add_u32_e32 v204, s56, v204                              // 00000000B844: 69999838
	s_and_b32 s56, s7, 1                                       // 00000000B848: 86388107
	s_mov_b32 s57, 32                                          // 00000000B84C: BEB900A0
	s_mul_i32 s56, s57, s56                                    // 00000000B850: 92383839
	v_add_u32_e32 v204, s56, v204                              // 00000000B854: 69999838
	v_add_u32_e32 v205, 1, v204                                // 00000000B858: 699B9881
	v_add_u32_e32 v206, 2, v204                                // 00000000B85C: 699D9882
	v_add_u32_e32 v207, 3, v204                                // 00000000B860: 699F9883
	v_mov_b32_e32 v37, 0xff800000                              // 00000000B864: 7E4A02FF FF800000
	v_cmp_le_i32_e64 s[36:37], v204, v35                       // 00000000B86C: D0C30024 000247CC
	s_nop 0                                                    // 00000000B874: BF800000
	v_cndmask_b32_e64 v44, v37, v44, s[36:37]                  // 00000000B878: D100002C 00925925
	v_add_u32_e32 v204, 8, v204                                // 00000000B880: 69999888
	v_cmp_le_i32_e64 s[36:37], v205, v35                       // 00000000B884: D0C30024 000247CD
	s_nop 0                                                    // 00000000B88C: BF800000
	v_cndmask_b32_e64 v45, v37, v45, s[36:37]                  // 00000000B890: D100002D 00925B25
	v_add_u32_e32 v205, 8, v205                                // 00000000B898: 699B9A88
	v_cmp_le_i32_e64 s[36:37], v206, v35                       // 00000000B89C: D0C30024 000247CE
	s_nop 0                                                    // 00000000B8A4: BF800000
	v_cndmask_b32_e64 v46, v37, v46, s[36:37]                  // 00000000B8A8: D100002E 00925D25
	v_add_u32_e32 v206, 8, v206                                // 00000000B8B0: 699D9C88
	v_cmp_le_i32_e64 s[36:37], v207, v35                       // 00000000B8B4: D0C30024 000247CF
	s_nop 0                                                    // 00000000B8BC: BF800000
	v_cndmask_b32_e64 v47, v37, v47, s[36:37]                  // 00000000B8C0: D100002F 00925F25
	v_add_u32_e32 v207, 8, v207                                // 00000000B8C8: 699F9E88
	v_cmp_le_i32_e64 s[36:37], v204, v35                       // 00000000B8CC: D0C30024 000247CC
	s_nop 0                                                    // 00000000B8D4: BF800000
	v_cndmask_b32_e64 v48, v37, v48, s[36:37]                  // 00000000B8D8: D1000030 00926125
	v_add_u32_e32 v204, 8, v204                                // 00000000B8E0: 69999888
	v_cmp_le_i32_e64 s[36:37], v205, v35                       // 00000000B8E4: D0C30024 000247CD
	s_nop 0                                                    // 00000000B8EC: BF800000
	v_cndmask_b32_e64 v49, v37, v49, s[36:37]                  // 00000000B8F0: D1000031 00926325
	v_add_u32_e32 v205, 8, v205                                // 00000000B8F8: 699B9A88
	v_cmp_le_i32_e64 s[36:37], v206, v35                       // 00000000B8FC: D0C30024 000247CE
	s_nop 0                                                    // 00000000B904: BF800000
	v_cndmask_b32_e64 v50, v37, v50, s[36:37]                  // 00000000B908: D1000032 00926525
	v_add_u32_e32 v206, 8, v206                                // 00000000B910: 699D9C88
	v_cmp_le_i32_e64 s[36:37], v207, v35                       // 00000000B914: D0C30024 000247CF
	s_nop 0                                                    // 00000000B91C: BF800000
	v_cndmask_b32_e64 v51, v37, v51, s[36:37]                  // 00000000B920: D1000033 00926725
	v_add_u32_e32 v207, 8, v207                                // 00000000B928: 699F9E88
	v_cmp_le_i32_e64 s[36:37], v204, v35                       // 00000000B92C: D0C30024 000247CC
	s_nop 0                                                    // 00000000B934: BF800000
	v_cndmask_b32_e64 v52, v37, v52, s[36:37]                  // 00000000B938: D1000034 00926925
	v_add_u32_e32 v204, 8, v204                                // 00000000B940: 69999888
	v_cmp_le_i32_e64 s[36:37], v205, v35                       // 00000000B944: D0C30024 000247CD
	s_nop 0                                                    // 00000000B94C: BF800000
	v_cndmask_b32_e64 v53, v37, v53, s[36:37]                  // 00000000B950: D1000035 00926B25
	v_add_u32_e32 v205, 8, v205                                // 00000000B958: 699B9A88
	v_cmp_le_i32_e64 s[36:37], v206, v35                       // 00000000B95C: D0C30024 000247CE
	s_nop 0                                                    // 00000000B964: BF800000
	v_cndmask_b32_e64 v54, v37, v54, s[36:37]                  // 00000000B968: D1000036 00926D25
	v_add_u32_e32 v206, 8, v206                                // 00000000B970: 699D9C88
	v_cmp_le_i32_e64 s[36:37], v207, v35                       // 00000000B974: D0C30024 000247CF
	s_nop 0                                                    // 00000000B97C: BF800000
	v_cndmask_b32_e64 v55, v37, v55, s[36:37]                  // 00000000B980: D1000037 00926F25
	v_add_u32_e32 v207, 8, v207                                // 00000000B988: 699F9E88
	v_cmp_le_i32_e64 s[36:37], v204, v35                       // 00000000B98C: D0C30024 000247CC
	s_nop 0                                                    // 00000000B994: BF800000
	v_cndmask_b32_e64 v56, v37, v56, s[36:37]                  // 00000000B998: D1000038 00927125
	v_add_u32_e32 v204, 8, v204                                // 00000000B9A0: 69999888
	v_cmp_le_i32_e64 s[36:37], v205, v35                       // 00000000B9A4: D0C30024 000247CD
	s_nop 0                                                    // 00000000B9AC: BF800000
	v_cndmask_b32_e64 v57, v37, v57, s[36:37]                  // 00000000B9B0: D1000039 00927325
	v_add_u32_e32 v205, 8, v205                                // 00000000B9B8: 699B9A88
	v_cmp_le_i32_e64 s[36:37], v206, v35                       // 00000000B9BC: D0C30024 000247CE
	s_nop 0                                                    // 00000000B9C4: BF800000
	v_cndmask_b32_e64 v58, v37, v58, s[36:37]                  // 00000000B9C8: D100003A 00927525
	v_add_u32_e32 v206, 8, v206                                // 00000000B9D0: 699D9C88
	v_cmp_le_i32_e64 s[36:37], v207, v35                       // 00000000B9D4: D0C30024 000247CF
	s_nop 0                                                    // 00000000B9DC: BF800000
	v_cndmask_b32_e64 v59, v37, v59, s[36:37]                  // 00000000B9E0: D100003B 00927725
	v_add_u32_e32 v207, 8, v207                                // 00000000B9E8: 699F9E88

000000000000b9ec <label_95EC>:
	s_and_b32 s56, s48, 0xff                                   // 00000000B9EC: 8638FF30 000000FF
	v_mov_b32_e32 v36, s56                                     // 00000000B9F4: 7E480238
	v_lshrrev_b32_e32 v204, 5, v0                              // 00000000B9F8: 21980085
	v_mul_i32_i24_e32 v204, 4, v204                            // 00000000B9FC: 0D999884
	s_and_b32 s56, s7, 1                                       // 00000000BA00: 86388107
	s_mov_b32 s57, 32                                          // 00000000BA04: BEB900A0
	s_mul_i32 s56, s57, s56                                    // 00000000BA08: 92383839
	v_add_u32_e32 v204, s56, v204                              // 00000000BA0C: 69999838
	v_add_u32_e32 v205, 1, v204                                // 00000000BA10: 699B9881
	v_add_u32_e32 v206, 2, v204                                // 00000000BA14: 699D9882
	v_add_u32_e32 v207, 3, v204                                // 00000000BA18: 699F9883
	v_mov_b32_e32 v35, 0xff800000                              // 00000000BA1C: 7E4602FF FF800000
	v_cmp_lt_u32_e64 s[36:37], v204, v36                       // 00000000BA24: D0C90024 000249CC
	v_add_u32_e32 v204, 8, v204                                // 00000000BA2C: 69999888
	s_nop 0                                                    // 00000000BA30: BF800000
	v_cndmask_b32_e64 v44, v35, v44, s[36:37]                  // 00000000BA34: D100002C 00925923
	v_cmp_lt_u32_e64 s[36:37], v205, v36                       // 00000000BA3C: D0C90024 000249CD
	v_add_u32_e32 v205, 8, v205                                // 00000000BA44: 699B9A88
	s_nop 0                                                    // 00000000BA48: BF800000
	v_cndmask_b32_e64 v45, v35, v45, s[36:37]                  // 00000000BA4C: D100002D 00925B23
	v_cmp_lt_u32_e64 s[36:37], v206, v36                       // 00000000BA54: D0C90024 000249CE
	v_add_u32_e32 v206, 8, v206                                // 00000000BA5C: 699D9C88
	s_nop 0                                                    // 00000000BA60: BF800000
	v_cndmask_b32_e64 v46, v35, v46, s[36:37]                  // 00000000BA64: D100002E 00925D23
	v_cmp_lt_u32_e64 s[36:37], v207, v36                       // 00000000BA6C: D0C90024 000249CF
	v_add_u32_e32 v207, 8, v207                                // 00000000BA74: 699F9E88
	s_nop 0                                                    // 00000000BA78: BF800000
	v_cndmask_b32_e64 v47, v35, v47, s[36:37]                  // 00000000BA7C: D100002F 00925F23
	v_cmp_lt_u32_e64 s[36:37], v204, v36                       // 00000000BA84: D0C90024 000249CC
	v_add_u32_e32 v204, 8, v204                                // 00000000BA8C: 69999888
	s_nop 0                                                    // 00000000BA90: BF800000
	v_cndmask_b32_e64 v48, v35, v48, s[36:37]                  // 00000000BA94: D1000030 00926123
	v_cmp_lt_u32_e64 s[36:37], v205, v36                       // 00000000BA9C: D0C90024 000249CD
	v_add_u32_e32 v205, 8, v205                                // 00000000BAA4: 699B9A88
	s_nop 0                                                    // 00000000BAA8: BF800000
	v_cndmask_b32_e64 v49, v35, v49, s[36:37]                  // 00000000BAAC: D1000031 00926323
	v_cmp_lt_u32_e64 s[36:37], v206, v36                       // 00000000BAB4: D0C90024 000249CE
	v_add_u32_e32 v206, 8, v206                                // 00000000BABC: 699D9C88
	s_nop 0                                                    // 00000000BAC0: BF800000
	v_cndmask_b32_e64 v50, v35, v50, s[36:37]                  // 00000000BAC4: D1000032 00926523
	v_cmp_lt_u32_e64 s[36:37], v207, v36                       // 00000000BACC: D0C90024 000249CF
	v_add_u32_e32 v207, 8, v207                                // 00000000BAD4: 699F9E88
	s_nop 0                                                    // 00000000BAD8: BF800000
	v_cndmask_b32_e64 v51, v35, v51, s[36:37]                  // 00000000BADC: D1000033 00926723
	v_cmp_lt_u32_e64 s[36:37], v204, v36                       // 00000000BAE4: D0C90024 000249CC
	v_add_u32_e32 v204, 8, v204                                // 00000000BAEC: 69999888
	s_nop 0                                                    // 00000000BAF0: BF800000
	v_cndmask_b32_e64 v52, v35, v52, s[36:37]                  // 00000000BAF4: D1000034 00926923
	v_cmp_lt_u32_e64 s[36:37], v205, v36                       // 00000000BAFC: D0C90024 000249CD
	v_add_u32_e32 v205, 8, v205                                // 00000000BB04: 699B9A88
	s_nop 0                                                    // 00000000BB08: BF800000
	v_cndmask_b32_e64 v53, v35, v53, s[36:37]                  // 00000000BB0C: D1000035 00926B23
	v_cmp_lt_u32_e64 s[36:37], v206, v36                       // 00000000BB14: D0C90024 000249CE
	v_add_u32_e32 v206, 8, v206                                // 00000000BB1C: 699D9C88
	s_nop 0                                                    // 00000000BB20: BF800000
	v_cndmask_b32_e64 v54, v35, v54, s[36:37]                  // 00000000BB24: D1000036 00926D23
	v_cmp_lt_u32_e64 s[36:37], v207, v36                       // 00000000BB2C: D0C90024 000249CF
	v_add_u32_e32 v207, 8, v207                                // 00000000BB34: 699F9E88
	s_nop 0                                                    // 00000000BB38: BF800000
	v_cndmask_b32_e64 v55, v35, v55, s[36:37]                  // 00000000BB3C: D1000037 00926F23
	v_cmp_lt_u32_e64 s[36:37], v204, v36                       // 00000000BB44: D0C90024 000249CC
	v_add_u32_e32 v204, 8, v204                                // 00000000BB4C: 69999888
	s_nop 0                                                    // 00000000BB50: BF800000
	v_cndmask_b32_e64 v56, v35, v56, s[36:37]                  // 00000000BB54: D1000038 00927123
	v_cmp_lt_u32_e64 s[36:37], v205, v36                       // 00000000BB5C: D0C90024 000249CD
	v_add_u32_e32 v205, 8, v205                                // 00000000BB64: 699B9A88
	s_nop 0                                                    // 00000000BB68: BF800000
	v_cndmask_b32_e64 v57, v35, v57, s[36:37]                  // 00000000BB6C: D1000039 00927323
	v_cmp_lt_u32_e64 s[36:37], v206, v36                       // 00000000BB74: D0C90024 000249CE
	v_add_u32_e32 v206, 8, v206                                // 00000000BB7C: 699D9C88
	s_nop 0                                                    // 00000000BB80: BF800000
	v_cndmask_b32_e64 v58, v35, v58, s[36:37]                  // 00000000BB84: D100003A 00927523
	v_cmp_lt_u32_e64 s[36:37], v207, v36                       // 00000000BB8C: D0C90024 000249CF
	v_add_u32_e32 v207, 8, v207                                // 00000000BB94: 699F9E88
	s_nop 0                                                    // 00000000BB98: BF800000
	v_cndmask_b32_e64 v59, v35, v59, s[36:37]                  // 00000000BB9C: D100003B 00927723
	s_nop 2                                                    // 00000000BBA4: BF800002
	v_mov_b32_e32 v213, v44                                    // 00000000BBA8: 7FAA032C
	v_max3_f32 v213, v44, v45, v213                            // 00000000BBAC: D1D300D5 07565B2C
	v_max3_f32 v213, v46, v47, v213                            // 00000000BBB4: D1D300D5 07565F2E
	v_max3_f32 v213, v48, v49, v213                            // 00000000BBBC: D1D300D5 07566330
	v_max3_f32 v213, v50, v51, v213                            // 00000000BBC4: D1D300D5 07566732
	v_max3_f32 v213, v52, v53, v213                            // 00000000BBCC: D1D300D5 07566B34
	v_max3_f32 v213, v54, v55, v213                            // 00000000BBD4: D1D300D5 07566F36
	v_max3_f32 v213, v56, v57, v213                            // 00000000BBDC: D1D300D5 07567338
	v_max3_f32 v213, v58, v59, v213                            // 00000000BBE4: D1D300D5 0756773A
	v_mov_b32_e32 v35, v213                                    // 00000000BBEC: 7E4603D5
	v_mov_b32_e32 v36, v213                                    // 00000000BBF0: 7E4803D5
	s_nop 1                                                    // 00000000BBF4: BF800001
	v_permlane32_swap_b32_e32 v35, v36                         // 00000000BBF8: 7E46B524
	v_max3_f32 v213, v35, v36, v213                            // 00000000BBFC: D1D300D5 07564923
	ds_write_b32 v41, v213                                     // 00000000BC04: D81A0000 0000D529
	s_waitcnt lgkmcnt(0)                                       // 00000000BC0C: BF8CC07F
	s_barrier                                                  // 00000000BC10: BF8A0000
	ds_read_b32 v35, v40                                       // 00000000BC14: D86C0000 23000028
	ds_read_b32 v36, v40 offset:256                            // 00000000BC1C: D86C0100 24000028
	s_waitcnt lgkmcnt(0)                                       // 00000000BC24: BF8CC07F
	v_max3_f32 v213, v35, v36, v213                            // 00000000BC28: D1D300D5 07564923
	v_mov_b32_e32 v35, 0xff800000                              // 00000000BC30: 7E4602FF FF800000
	v_cmp_eq_u32_e64 s[36:37], v35, v2                         // 00000000BC38: D0CA0024 00020523
	v_max_f32_e32 v216, v213, v2                               // 00000000BC40: 17B005D5
	v_sub_f32_e32 v21, v2, v216                                // 00000000BC44: 042BB102
	v_cndmask_b32_e64 v21, v21, 0, s[36:37]                    // 00000000BC48: D1000015 00910115
	v_mov_b32_e32 v2, v216                                     // 00000000BC50: 7E0403D8
	v_mul_f32_e32 v212, s5, v216                               // 00000000BC54: 0BA9B005
	v_mul_f32_e32 v21, s5, v21                                 // 00000000BC58: 0A2A2A05
	v_exp_f32_e32 v21, v21                                     // 00000000BC5C: 7E2A4115
	v_fma_f32 v44, v44, s5, -v212                              // 00000000BC60: D1CB002C 87500B2C
	v_fma_f32 v45, v45, s5, -v212                              // 00000000BC68: D1CB002D 87500B2D
	v_fma_f32 v46, v46, s5, -v212                              // 00000000BC70: D1CB002E 87500B2E
	v_fma_f32 v47, v47, s5, -v212                              // 00000000BC78: D1CB002F 87500B2F
	v_fma_f32 v48, v48, s5, -v212                              // 00000000BC80: D1CB0030 87500B30
	v_fma_f32 v49, v49, s5, -v212                              // 00000000BC88: D1CB0031 87500B31
	v_fma_f32 v50, v50, s5, -v212                              // 00000000BC90: D1CB0032 87500B32
	v_fma_f32 v51, v51, s5, -v212                              // 00000000BC98: D1CB0033 87500B33
	v_fma_f32 v52, v52, s5, -v212                              // 00000000BCA0: D1CB0034 87500B34
	v_fma_f32 v53, v53, s5, -v212                              // 00000000BCA8: D1CB0035 87500B35
	v_fma_f32 v54, v54, s5, -v212                              // 00000000BCB0: D1CB0036 87500B36
	v_fma_f32 v55, v55, s5, -v212                              // 00000000BCB8: D1CB0037 87500B37
	v_fma_f32 v56, v56, s5, -v212                              // 00000000BCC0: D1CB0038 87500B38
	v_fma_f32 v57, v57, s5, -v212                              // 00000000BCC8: D1CB0039 87500B39
	v_fma_f32 v58, v58, s5, -v212                              // 00000000BCD0: D1CB003A 87500B3A
	v_fma_f32 v59, v59, s5, -v212                              // 00000000BCD8: D1CB003B 87500B3B
	v_mov_b32_e32 v35, 0xffc00000                              // 00000000BCE0: 7E4602FF FFC00000
	v_exp_f32_e32 v44, v44                                     // 00000000BCE8: 7E58412C
	v_exp_f32_e32 v45, v45                                     // 00000000BCEC: 7E5A412D
	v_exp_f32_e32 v46, v46                                     // 00000000BCF0: 7E5C412E
	v_exp_f32_e32 v47, v47                                     // 00000000BCF4: 7E5E412F
	v_exp_f32_e32 v48, v48                                     // 00000000BCF8: 7E604130
	v_exp_f32_e32 v49, v49                                     // 00000000BCFC: 7E624131
	v_exp_f32_e32 v50, v50                                     // 00000000BD00: 7E644132
	v_exp_f32_e32 v51, v51                                     // 00000000BD04: 7E664133
	v_exp_f32_e32 v52, v52                                     // 00000000BD08: 7E684134
	v_exp_f32_e32 v53, v53                                     // 00000000BD0C: 7E6A4135
	v_exp_f32_e32 v54, v54                                     // 00000000BD10: 7E6C4136
	v_exp_f32_e32 v55, v55                                     // 00000000BD14: 7E6E4137
	v_exp_f32_e32 v56, v56                                     // 00000000BD18: 7E704138
	v_exp_f32_e32 v57, v57                                     // 00000000BD1C: 7E724139
	v_exp_f32_e32 v58, v58                                     // 00000000BD20: 7E74413A
	v_exp_f32_e32 v59, v59                                     // 00000000BD24: 7E76413B
	v_mul_f32_e32 v4, v21, v4                                  // 00000000BD28: 0A080915
	v_mov_b32_e32 v35, v44                                     // 00000000BD2C: 7E46032C
	v_add_f32_e32 v35, v45, v35                                // 00000000BD30: 0246472D
	v_add_f32_e32 v35, v46, v35                                // 00000000BD34: 0246472E
	v_add_f32_e32 v35, v47, v35                                // 00000000BD38: 0246472F
	v_add_f32_e32 v35, v48, v35                                // 00000000BD3C: 02464730
	v_add_f32_e32 v35, v49, v35                                // 00000000BD40: 02464731
	v_add_f32_e32 v35, v50, v35                                // 00000000BD44: 02464732
	v_add_f32_e32 v35, v51, v35                                // 00000000BD48: 02464733
	v_add_f32_e32 v35, v52, v35                                // 00000000BD4C: 02464734
	v_add_f32_e32 v35, v53, v35                                // 00000000BD50: 02464735
	v_add_f32_e32 v35, v54, v35                                // 00000000BD54: 02464736
	v_add_f32_e32 v35, v55, v35                                // 00000000BD58: 02464737
	v_add_f32_e32 v35, v56, v35                                // 00000000BD5C: 02464738
	v_add_f32_e32 v35, v57, v35                                // 00000000BD60: 02464739
	v_add_f32_e32 v35, v58, v35                                // 00000000BD64: 0246473A
	v_add_f32_e32 v35, v59, v35                                // 00000000BD68: 0246473B
	v_add_f32_e32 v4, v35, v4                                  // 00000000BD6C: 02080923
	v_cvt_pk_fp8_f32 v44, v44, v45                             // 00000000BD70: D2A2002C 00025B2C
	v_cvt_pk_fp8_f32 v44, v46, v47 op_sel:[0,0,1]              // 00000000BD78: D2A2402C 00025F2E
	v_cvt_pk_fp8_f32 v45, v48, v49                             // 00000000BD80: D2A2002D 00026330
	v_cvt_pk_fp8_f32 v45, v50, v51 op_sel:[0,0,1]              // 00000000BD88: D2A2402D 00026732
	v_cvt_pk_fp8_f32 v46, v52, v53                             // 00000000BD90: D2A2002E 00026B34
	v_cvt_pk_fp8_f32 v46, v54, v55 op_sel:[0,0,1]              // 00000000BD98: D2A2402E 00026F36
	v_cvt_pk_fp8_f32 v47, v56, v57                             // 00000000BDA0: D2A2002F 00027338
	v_cvt_pk_fp8_f32 v47, v58, v59 op_sel:[0,0,1]              // 00000000BDA8: D2A2402F 0002773A
	ds_write_b128 v43, v[44:47] offset:1024                    // 00000000BDB0: D9BE0400 00002C2B
	s_waitcnt lgkmcnt(0)                                       // 00000000BDB8: BF8CC07F
	s_barrier                                                  // 00000000BDBC: BF8A0000
	ds_read_b128 v[44:47], v42 offset:1024                     // 00000000BDC0: D9FE0400 2C00002A
	ds_read_b128 v[48:51], v42 offset:2048                     // 00000000BDC8: D9FE0800 3000002A
	s_waitcnt lgkmcnt(0)                                       // 00000000BDD0: BF8CC07F
	v_permlane32_swap_b32_e32 v44, v46                         // 00000000BDD4: 7E58B52E
	v_permlane32_swap_b32_e32 v45, v47                         // 00000000BDD8: 7E5AB52F
	v_swap_b32 v45, v46                                        // 00000000BDDC: 7E5AA32E
	v_permlane32_swap_b32_e32 v48, v50                         // 00000000BDE0: 7E60B532
	v_permlane32_swap_b32_e32 v49, v51                         // 00000000BDE4: 7E62B533
	v_swap_b32 v49, v50                                        // 00000000BDE8: 7E62A332
	v_mov_b32_e32 v36, v21                                     // 00000000BDEC: 7E480315
	v_mov_b32_e32 v37, v21                                     // 00000000BDF0: 7E4A0315
	v_pk_mul_f32 v[76:77], v[36:37], v[76:77]                  // 00000000BDF4: D3B1404C 18029924
	v_pk_mul_f32 v[78:79], v[36:37], v[78:79]                  // 00000000BDFC: D3B1404E 18029D24
	v_pk_mul_f32 v[80:81], v[36:37], v[80:81]                  // 00000000BE04: D3B14050 1802A124
	v_pk_mul_f32 v[82:83], v[36:37], v[82:83]                  // 00000000BE0C: D3B14052 1802A524
	v_pk_mul_f32 v[84:85], v[36:37], v[84:85]                  // 00000000BE14: D3B14054 1802A924
	v_pk_mul_f32 v[86:87], v[36:37], v[86:87]                  // 00000000BE1C: D3B14056 1802AD24
	v_pk_mul_f32 v[88:89], v[36:37], v[88:89]                  // 00000000BE24: D3B14058 1802B124
	v_pk_mul_f32 v[90:91], v[36:37], v[90:91]                  // 00000000BE2C: D3B1405A 1802B524
	v_pk_mul_f32 v[92:93], v[36:37], v[92:93]                  // 00000000BE34: D3B1405C 1802B924
	v_pk_mul_f32 v[94:95], v[36:37], v[94:95]                  // 00000000BE3C: D3B1405E 1802BD24
	v_pk_mul_f32 v[96:97], v[36:37], v[96:97]                  // 00000000BE44: D3B14060 1802C124
	v_pk_mul_f32 v[98:99], v[36:37], v[98:99]                  // 00000000BE4C: D3B14062 1802C524
	v_pk_mul_f32 v[100:101], v[36:37], v[100:101]              // 00000000BE54: D3B14064 1802C924
	v_pk_mul_f32 v[102:103], v[36:37], v[102:103]              // 00000000BE5C: D3B14066 1802CD24
	v_pk_mul_f32 v[104:105], v[36:37], v[104:105]              // 00000000BE64: D3B14068 1802D124
	v_pk_mul_f32 v[106:107], v[36:37], v[106:107]              // 00000000BE6C: D3B1406A 1802D524
	v_pk_mul_f32 v[108:109], v[36:37], v[108:109]              // 00000000BE74: D3B1406C 1802D924
	v_pk_mul_f32 v[110:111], v[36:37], v[110:111]              // 00000000BE7C: D3B1406E 1802DD24
	v_pk_mul_f32 v[112:113], v[36:37], v[112:113]              // 00000000BE84: D3B14070 1802E124
	v_pk_mul_f32 v[114:115], v[36:37], v[114:115]              // 00000000BE8C: D3B14072 1802E524
	v_pk_mul_f32 v[116:117], v[36:37], v[116:117]              // 00000000BE94: D3B14074 1802E924
	v_pk_mul_f32 v[118:119], v[36:37], v[118:119]              // 00000000BE9C: D3B14076 1802ED24
	v_pk_mul_f32 v[120:121], v[36:37], v[120:121]              // 00000000BEA4: D3B14078 1802F124
	v_pk_mul_f32 v[122:123], v[36:37], v[122:123]              // 00000000BEAC: D3B1407A 1802F524
	v_pk_mul_f32 v[124:125], v[36:37], v[124:125]              // 00000000BEB4: D3B1407C 1802F924
	v_pk_mul_f32 v[126:127], v[36:37], v[126:127]              // 00000000BEBC: D3B1407E 1802FD24
	v_pk_mul_f32 v[128:129], v[36:37], v[128:129]              // 00000000BEC4: D3B14080 18030124
	v_pk_mul_f32 v[130:131], v[36:37], v[130:131]              // 00000000BECC: D3B14082 18030524
	v_pk_mul_f32 v[132:133], v[36:37], v[132:133]              // 00000000BED4: D3B14084 18030924
	v_pk_mul_f32 v[134:135], v[36:37], v[134:135]              // 00000000BEDC: D3B14086 18030D24
	v_pk_mul_f32 v[136:137], v[36:37], v[136:137]              // 00000000BEE4: D3B14088 18031124
	v_pk_mul_f32 v[138:139], v[36:37], v[138:139]              // 00000000BEEC: D3B1408A 18031524
	v_pk_mul_f32 v[140:141], v[36:37], v[140:141]              // 00000000BEF4: D3B1408C 18031924
	v_pk_mul_f32 v[142:143], v[36:37], v[142:143]              // 00000000BEFC: D3B1408E 18031D24
	v_pk_mul_f32 v[144:145], v[36:37], v[144:145]              // 00000000BF04: D3B14090 18032124
	v_pk_mul_f32 v[146:147], v[36:37], v[146:147]              // 00000000BF0C: D3B14092 18032524
	v_pk_mul_f32 v[148:149], v[36:37], v[148:149]              // 00000000BF14: D3B14094 18032924
	v_pk_mul_f32 v[150:151], v[36:37], v[150:151]              // 00000000BF1C: D3B14096 18032D24
	v_pk_mul_f32 v[152:153], v[36:37], v[152:153]              // 00000000BF24: D3B14098 18033124
	v_pk_mul_f32 v[154:155], v[36:37], v[154:155]              // 00000000BF2C: D3B1409A 18033524
	v_pk_mul_f32 v[156:157], v[36:37], v[156:157]              // 00000000BF34: D3B1409C 18033924
	v_pk_mul_f32 v[158:159], v[36:37], v[158:159]              // 00000000BF3C: D3B1409E 18033D24
	v_pk_mul_f32 v[160:161], v[36:37], v[160:161]              // 00000000BF44: D3B140A0 18034124
	v_pk_mul_f32 v[162:163], v[36:37], v[162:163]              // 00000000BF4C: D3B140A2 18034524
	v_pk_mul_f32 v[164:165], v[36:37], v[164:165]              // 00000000BF54: D3B140A4 18034924
	v_pk_mul_f32 v[166:167], v[36:37], v[166:167]              // 00000000BF5C: D3B140A6 18034D24
	v_pk_mul_f32 v[168:169], v[36:37], v[168:169]              // 00000000BF64: D3B140A8 18035124
	v_pk_mul_f32 v[170:171], v[36:37], v[170:171]              // 00000000BF6C: D3B140AA 18035524
	v_pk_mul_f32 v[172:173], v[36:37], v[172:173]              // 00000000BF74: D3B140AC 18035924
	v_pk_mul_f32 v[174:175], v[36:37], v[174:175]              // 00000000BF7C: D3B140AE 18035D24
	v_pk_mul_f32 v[176:177], v[36:37], v[176:177]              // 00000000BF84: D3B140B0 18036124
	v_pk_mul_f32 v[178:179], v[36:37], v[178:179]              // 00000000BF8C: D3B140B2 18036524
	v_pk_mul_f32 v[180:181], v[36:37], v[180:181]              // 00000000BF94: D3B140B4 18036924
	v_pk_mul_f32 v[182:183], v[36:37], v[182:183]              // 00000000BF9C: D3B140B6 18036D24
	v_pk_mul_f32 v[184:185], v[36:37], v[184:185]              // 00000000BFA4: D3B140B8 18037124
	v_pk_mul_f32 v[186:187], v[36:37], v[186:187]              // 00000000BFAC: D3B140BA 18037524
	v_pk_mul_f32 v[188:189], v[36:37], v[188:189]              // 00000000BFB4: D3B140BC 18037924
	v_pk_mul_f32 v[190:191], v[36:37], v[190:191]              // 00000000BFBC: D3B140BE 18037D24
	v_pk_mul_f32 v[192:193], v[36:37], v[192:193]              // 00000000BFC4: D3B140C0 18038124
	v_pk_mul_f32 v[194:195], v[36:37], v[194:195]              // 00000000BFCC: D3B140C2 18038524
	v_pk_mul_f32 v[196:197], v[36:37], v[196:197]              // 00000000BFD4: D3B140C4 18038924
	v_pk_mul_f32 v[198:199], v[36:37], v[198:199]              // 00000000BFDC: D3B140C6 18038D24
	v_pk_mul_f32 v[200:201], v[36:37], v[200:201]              // 00000000BFE4: D3B140C8 18039124
	v_pk_mul_f32 v[202:203], v[36:37], v[202:203]              // 00000000BFEC: D3B140CA 18039524
	v_mfma_f32_32x32x64_f8f6f4 v[76:91], a[72:79], v[44:51], v[76:91]// 00000000BFF4: D3AE004C 0D325948
	v_mfma_f32_32x32x64_f8f6f4 v[92:107], a[80:87], v[44:51], v[92:107]// 00000000BFFC: D3AE005C 0D725950
	v_mfma_f32_32x32x64_f8f6f4 v[108:123], a[88:95], v[44:51], v[108:123]// 00000000C004: D3AE006C 0DB25958
	v_mfma_f32_32x32x64_f8f6f4 v[124:139], a[96:103], v[44:51], v[124:139]// 00000000C00C: D3AE007C 0DF25960
	v_mfma_f32_32x32x64_f8f6f4 v[140:155], a[104:111], v[44:51], v[140:155]// 00000000C014: D3AE008C 0E325968
	v_mfma_f32_32x32x64_f8f6f4 v[156:171], a[112:119], v[44:51], v[156:171]// 00000000C01C: D3AE009C 0E725970
	v_mfma_f32_32x32x64_f8f6f4 v[172:187], a[120:127], v[44:51], v[172:187]// 00000000C024: D3AE00AC 0EB25978
	v_mfma_f32_32x32x64_f8f6f4 v[188:203], a[128:135], v[44:51], v[188:203]// 00000000C02C: D3AE00BC 0EF25980
	s_nop 8                                                    // 00000000C034: BF800008
	s_branch label_9C3C                                        // 00000000C038: BF820000

000000000000c03c <label_9C3C>:
	ds_write_b32 v41, v4                                       // 00000000C03C: D81A0000 00000429
	s_waitcnt lgkmcnt(0)                                       // 00000000C044: BF8CC07F
	s_barrier                                                  // 00000000C048: BF8A0000
	ds_read_b32 v35, v40                                       // 00000000C04C: D86C0000 23000028
	ds_read_b32 v37, v40 offset:256                            // 00000000C054: D86C0100 25000028
	s_waitcnt lgkmcnt(0)                                       // 00000000C05C: BF8CC07F
	v_mov_b32_e32 v36, v35                                     // 00000000C060: 7E480323
	v_mov_b32_e32 v38, v37                                     // 00000000C064: 7E4C0325
	s_nop 0                                                    // 00000000C068: BF800000
	v_permlane32_swap_b32_e32 v35, v36                         // 00000000C06C: 7E46B524
	v_permlane32_swap_b32_e32 v37, v38                         // 00000000C070: 7E4AB526
	v_mov_b32_e32 v4, 0                                        // 00000000C074: 7E080280
	v_add_f32_e32 v4, v35, v4                                  // 00000000C078: 02080923
	v_add_f32_e32 v4, v36, v4                                  // 00000000C07C: 02080924
	v_add_f32_e32 v4, v37, v4                                  // 00000000C080: 02080925
	v_add_f32_e32 v4, v38, v4                                  // 00000000C084: 02080926
	v_mov_b32_e32 v35, 0                                       // 00000000C088: 7E460280
	v_cmp_eq_u32_e64 s[36:37], v35, v4                         // 00000000C08C: D0CA0024 00020923
	v_mul_f32_e64 v35, v2, s64                                 // 00000000C094: D1050023 00008102
	v_log_f32_e32 v36, v4                                      // 00000000C09C: 7E484304
	s_nop 1                                                    // 00000000C0A0: BF800001
	v_rcp_f32_e32 v4, v4                                       // 00000000C0A4: 7E084504
	s_nop 1                                                    // 00000000C0A8: BF800001
	v_fma_f32 v218, v36, s63, v35                              // 00000000C0AC: D1CB00DA 048C7F24
	v_mul_f32_e32 v4, s61, v4                                  // 00000000C0B4: 0A08083D
	v_mov_b32_e32 v44, v4                                      // 00000000C0B8: 7E580304
	v_mov_b32_e32 v45, v4                                      // 00000000C0BC: 7E5A0304
	v_pk_mul_f32 v[76:77], v[44:45], v[76:77]                  // 00000000C0C0: D3B1404C 1802992C
	v_pk_mul_f32 v[78:79], v[44:45], v[78:79]                  // 00000000C0C8: D3B1404E 18029D2C
	v_pk_mul_f32 v[80:81], v[44:45], v[80:81]                  // 00000000C0D0: D3B14050 1802A12C
	v_pk_mul_f32 v[82:83], v[44:45], v[82:83]                  // 00000000C0D8: D3B14052 1802A52C
	v_pk_mul_f32 v[84:85], v[44:45], v[84:85]                  // 00000000C0E0: D3B14054 1802A92C
	v_pk_mul_f32 v[86:87], v[44:45], v[86:87]                  // 00000000C0E8: D3B14056 1802AD2C
	v_pk_mul_f32 v[88:89], v[44:45], v[88:89]                  // 00000000C0F0: D3B14058 1802B12C
	v_pk_mul_f32 v[90:91], v[44:45], v[90:91]                  // 00000000C0F8: D3B1405A 1802B52C
	v_pk_mul_f32 v[92:93], v[44:45], v[92:93]                  // 00000000C100: D3B1405C 1802B92C
	v_pk_mul_f32 v[94:95], v[44:45], v[94:95]                  // 00000000C108: D3B1405E 1802BD2C
	v_pk_mul_f32 v[96:97], v[44:45], v[96:97]                  // 00000000C110: D3B14060 1802C12C
	v_pk_mul_f32 v[98:99], v[44:45], v[98:99]                  // 00000000C118: D3B14062 1802C52C
	v_pk_mul_f32 v[100:101], v[44:45], v[100:101]              // 00000000C120: D3B14064 1802C92C
	v_pk_mul_f32 v[102:103], v[44:45], v[102:103]              // 00000000C128: D3B14066 1802CD2C
	v_pk_mul_f32 v[104:105], v[44:45], v[104:105]              // 00000000C130: D3B14068 1802D12C
	v_pk_mul_f32 v[106:107], v[44:45], v[106:107]              // 00000000C138: D3B1406A 1802D52C
	v_pk_mul_f32 v[108:109], v[44:45], v[108:109]              // 00000000C140: D3B1406C 1802D92C
	v_pk_mul_f32 v[110:111], v[44:45], v[110:111]              // 00000000C148: D3B1406E 1802DD2C
	v_pk_mul_f32 v[112:113], v[44:45], v[112:113]              // 00000000C150: D3B14070 1802E12C
	v_pk_mul_f32 v[114:115], v[44:45], v[114:115]              // 00000000C158: D3B14072 1802E52C
	v_pk_mul_f32 v[116:117], v[44:45], v[116:117]              // 00000000C160: D3B14074 1802E92C
	v_pk_mul_f32 v[118:119], v[44:45], v[118:119]              // 00000000C168: D3B14076 1802ED2C
	v_pk_mul_f32 v[120:121], v[44:45], v[120:121]              // 00000000C170: D3B14078 1802F12C
	v_pk_mul_f32 v[122:123], v[44:45], v[122:123]              // 00000000C178: D3B1407A 1802F52C
	v_pk_mul_f32 v[124:125], v[44:45], v[124:125]              // 00000000C180: D3B1407C 1802F92C
	v_pk_mul_f32 v[126:127], v[44:45], v[126:127]              // 00000000C188: D3B1407E 1802FD2C
	v_pk_mul_f32 v[128:129], v[44:45], v[128:129]              // 00000000C190: D3B14080 1803012C
	v_pk_mul_f32 v[130:131], v[44:45], v[130:131]              // 00000000C198: D3B14082 1803052C
	v_pk_mul_f32 v[132:133], v[44:45], v[132:133]              // 00000000C1A0: D3B14084 1803092C
	v_pk_mul_f32 v[134:135], v[44:45], v[134:135]              // 00000000C1A8: D3B14086 18030D2C
	v_pk_mul_f32 v[136:137], v[44:45], v[136:137]              // 00000000C1B0: D3B14088 1803112C
	v_pk_mul_f32 v[138:139], v[44:45], v[138:139]              // 00000000C1B8: D3B1408A 1803152C
	v_pk_mul_f32 v[140:141], v[44:45], v[140:141]              // 00000000C1C0: D3B1408C 1803192C
	v_pk_mul_f32 v[142:143], v[44:45], v[142:143]              // 00000000C1C8: D3B1408E 18031D2C
	v_pk_mul_f32 v[144:145], v[44:45], v[144:145]              // 00000000C1D0: D3B14090 1803212C
	v_pk_mul_f32 v[146:147], v[44:45], v[146:147]              // 00000000C1D8: D3B14092 1803252C
	v_pk_mul_f32 v[148:149], v[44:45], v[148:149]              // 00000000C1E0: D3B14094 1803292C
	v_pk_mul_f32 v[150:151], v[44:45], v[150:151]              // 00000000C1E8: D3B14096 18032D2C
	v_pk_mul_f32 v[152:153], v[44:45], v[152:153]              // 00000000C1F0: D3B14098 1803312C
	v_pk_mul_f32 v[154:155], v[44:45], v[154:155]              // 00000000C1F8: D3B1409A 1803352C
	v_pk_mul_f32 v[156:157], v[44:45], v[156:157]              // 00000000C200: D3B1409C 1803392C
	v_pk_mul_f32 v[158:159], v[44:45], v[158:159]              // 00000000C208: D3B1409E 18033D2C
	v_pk_mul_f32 v[160:161], v[44:45], v[160:161]              // 00000000C210: D3B140A0 1803412C
	v_pk_mul_f32 v[162:163], v[44:45], v[162:163]              // 00000000C218: D3B140A2 1803452C
	v_pk_mul_f32 v[164:165], v[44:45], v[164:165]              // 00000000C220: D3B140A4 1803492C
	v_pk_mul_f32 v[166:167], v[44:45], v[166:167]              // 00000000C228: D3B140A6 18034D2C
	v_pk_mul_f32 v[168:169], v[44:45], v[168:169]              // 00000000C230: D3B140A8 1803512C
	v_pk_mul_f32 v[170:171], v[44:45], v[170:171]              // 00000000C238: D3B140AA 1803552C
	v_pk_mul_f32 v[172:173], v[44:45], v[172:173]              // 00000000C240: D3B140AC 1803592C
	v_pk_mul_f32 v[174:175], v[44:45], v[174:175]              // 00000000C248: D3B140AE 18035D2C
	v_pk_mul_f32 v[176:177], v[44:45], v[176:177]              // 00000000C250: D3B140B0 1803612C
	v_pk_mul_f32 v[178:179], v[44:45], v[178:179]              // 00000000C258: D3B140B2 1803652C
	v_pk_mul_f32 v[180:181], v[44:45], v[180:181]              // 00000000C260: D3B140B4 1803692C
	v_pk_mul_f32 v[182:183], v[44:45], v[182:183]              // 00000000C268: D3B140B6 18036D2C
	v_pk_mul_f32 v[184:185], v[44:45], v[184:185]              // 00000000C270: D3B140B8 1803712C
	v_pk_mul_f32 v[186:187], v[44:45], v[186:187]              // 00000000C278: D3B140BA 1803752C
	v_pk_mul_f32 v[188:189], v[44:45], v[188:189]              // 00000000C280: D3B140BC 1803792C
	v_pk_mul_f32 v[190:191], v[44:45], v[190:191]              // 00000000C288: D3B140BE 18037D2C
	v_pk_mul_f32 v[192:193], v[44:45], v[192:193]              // 00000000C290: D3B140C0 1803812C
	v_pk_mul_f32 v[194:195], v[44:45], v[194:195]              // 00000000C298: D3B140C2 1803852C
	v_pk_mul_f32 v[196:197], v[44:45], v[196:197]              // 00000000C2A0: D3B140C4 1803892C
	v_pk_mul_f32 v[198:199], v[44:45], v[198:199]              // 00000000C2A8: D3B140C6 18038D2C
	v_pk_mul_f32 v[200:201], v[44:45], v[200:201]              // 00000000C2B0: D3B140C8 1803912C
	v_pk_mul_f32 v[202:203], v[44:45], v[202:203]              // 00000000C2B8: D3B140CA 1803952C
	s_cmp_eq_u32 s62, 1                                        // 00000000C2C0: BF06813E
	s_cbranch_scc1 label_A6C0                                  // 00000000C2C4: BF8501FE
	s_mul_i32 s75, 0x800, 16                                   // 00000000C2C8: 924B90FF 00000800
	s_mov_b32 s56, s79                                         // 00000000C2D0: BEB8004F
	s_mul_i32 s56, s56, s75                                    // 00000000C2D4: 92384B38
	s_add_u32 s8, s56, s8                                      // 00000000C2D8: 80080838
	s_addc_u32 s9, 0, s9                                       // 00000000C2DC: 82090980
	s_mul_i32 s56, s75, s81                                    // 00000000C2E0: 9238514B
	s_mov_b32 s10, s56                                         // 00000000C2E4: BE8A0038
	s_mov_b32 s57, 0x10000                                     // 00000000C2E8: BEB900FF 00010000
	s_lshr_b32 s56, s7, 1                                      // 00000000C2F0: 8F388107
	s_mul_i32 s56, s56, s57                                    // 00000000C2F4: 92383938
	s_mov_b32 s58, 0x400                                       // 00000000C2F8: BEBA00FF 00000400
	s_and_b32 s57, 1, s7                                       // 00000000C300: 86390781
	s_mul_i32 s57, s57, s58                                    // 00000000C304: 92393A39
	s_add_u32 s56, s56, s57                                    // 00000000C308: 80383938
	v_lshrrev_b32_e32 v219, 2, v0                              // 00000000C30C: 21B60082
	s_mov_b32 s57, 0x800                                       // 00000000C310: BEB900FF 00000800
	v_mul_i32_i24_e32 v219, s57, v219                          // 00000000C318: 0DB7B639
	v_and_b32_e32 v35, 3, v0                                   // 00000000C31C: 26460083
	v_lshlrev_b32_e32 v35, 4, v35                              // 00000000C320: 24464684
	v_add_u32_e32 v219, v35, v219                              // 00000000C324: 69B7B723
	v_add_u32_e32 v219, s56, v219                              // 00000000C328: 69B7B638
	s_mov_b32 s57, 0x8000                                      // 00000000C32C: BEB900FF 00008000
	v_add_u32_e32 v220, s57, v219                              // 00000000C334: 69B9B639
	s_mul_i32 s58, 4, 16                                       // 00000000C338: 923A9084
	s_mul_i32 s56, s79, s58                                    // 00000000C33C: 92383A4F
	s_add_u32 s12, s56, s12                                    // 00000000C340: 800C0C38
	s_addc_u32 s13, 0, s13                                     // 00000000C344: 820D0D80
	s_mul_i32 s58, s58, s81                                    // 00000000C348: 923A513A
	s_mov_b32 s14, s58                                         // 00000000C34C: BE8E003A
	v_and_b32_e32 v221, 31, v0                                 // 00000000C350: 27BA009F
	v_lshlrev_b32_e32 v221, 2, v221                            // 00000000C354: 25BBBA82
	s_mul_i32 s58, 4, 32                                       // 00000000C358: 923AA084
	s_lshr_b32 s56, s7, 1                                      // 00000000C35C: 8F388107
	s_mul_i32 s56, s56, s58                                    // 00000000C360: 92383A38
	v_add_u32_e64 v221, v221, s56                              // 00000000C364: D13400DD 000071DD
	v_and_b32_e32 v35, 1, v0                                   // 00000000C36C: 26460081
	v_lshlrev_b32_e32 v35, 5, v35                              // 00000000C370: 24464685
	v_and_b32_e32 v36, 3, v0                                   // 00000000C374: 26480083
	v_lshrrev_b32_e32 v36, 1, v36                              // 00000000C378: 20484881
	v_lshlrev_b32_e32 v36, 4, v36                              // 00000000C37C: 24484884
	v_add_u32_e32 v35, v35, v36                                // 00000000C380: 68464923
	v_lshrrev_b32_e32 v36, 2, v0                               // 00000000C384: 20480082
	v_add_u32_e32 v35, v35, v36                                // 00000000C388: 68464923
	v_lshlrev_b32_e32 v35, 2, v35                              // 00000000C38C: 24464682
	v_lshlrev_b32_e32 v37, 4, v0                               // 00000000C390: 244A0084
	v_permlane16_swap_b32_e32 v76, v80                         // 00000000C394: 7E98B350
	v_permlane16_swap_b32_e32 v77, v81                         // 00000000C398: 7E9AB351
	v_permlane16_swap_b32_e32 v78, v82                         // 00000000C39C: 7E9CB352
	v_permlane16_swap_b32_e32 v79, v83                         // 00000000C3A0: 7E9EB353
	ds_bpermute_b32 v44, v35, v76                              // 00000000C3A4: D87E0000 2C004C23
	ds_bpermute_b32 v45, v35, v77                              // 00000000C3AC: D87E0000 2D004D23
	ds_bpermute_b32 v46, v35, v78                              // 00000000C3B4: D87E0000 2E004E23
	ds_bpermute_b32 v47, v35, v79                              // 00000000C3BC: D87E0000 2F004F23
	ds_bpermute_b32 v48, v35, v80                              // 00000000C3C4: D87E0000 30005023
	ds_bpermute_b32 v49, v35, v81                              // 00000000C3CC: D87E0000 31005123
	ds_bpermute_b32 v50, v35, v82                              // 00000000C3D4: D87E0000 32005223
	ds_bpermute_b32 v51, v35, v83                              // 00000000C3DC: D87E0000 33005323
	v_permlane16_swap_b32_e32 v84, v88                         // 00000000C3E4: 7EA8B358
	v_permlane16_swap_b32_e32 v85, v89                         // 00000000C3E8: 7EAAB359
	v_permlane16_swap_b32_e32 v86, v90                         // 00000000C3EC: 7EACB35A
	v_permlane16_swap_b32_e32 v87, v91                         // 00000000C3F0: 7EAEB35B
	ds_bpermute_b32 v52, v35, v84                              // 00000000C3F4: D87E0000 34005423
	ds_bpermute_b32 v53, v35, v85                              // 00000000C3FC: D87E0000 35005523
	ds_bpermute_b32 v54, v35, v86                              // 00000000C404: D87E0000 36005623
	ds_bpermute_b32 v55, v35, v87                              // 00000000C40C: D87E0000 37005723
	ds_bpermute_b32 v56, v35, v88                              // 00000000C414: D87E0000 38005823
	ds_bpermute_b32 v57, v35, v89                              // 00000000C41C: D87E0000 39005923
	ds_bpermute_b32 v58, v35, v90                              // 00000000C424: D87E0000 3A005A23
	ds_bpermute_b32 v59, v35, v91                              // 00000000C42C: D87E0000 3B005B23
	s_waitcnt lgkmcnt(12)                                      // 00000000C434: BF8CCC7F
	buffer_store_dwordx4 v[44:47], v219, s[8:11], 0 offen      // 00000000C438: E07C1000 80022CDB
	s_waitcnt lgkmcnt(8)                                       // 00000000C440: BF8CC87F
	buffer_store_dwordx4 v[48:51], v220, s[8:11], 0 offen      // 00000000C444: E07C1000 800230DC
	s_mov_b32 s56, 64                                          // 00000000C44C: BEB800C0
	v_add_u32_e32 v219, s56, v219                              // 00000000C450: 69B7B638
	v_add_u32_e32 v220, s56, v220                              // 00000000C454: 69B9B838
	s_waitcnt lgkmcnt(4)                                       // 00000000C458: BF8CC47F
	buffer_store_dwordx4 v[52:55], v219, s[8:11], 0 offen      // 00000000C45C: E07C1000 800234DB
	s_waitcnt lgkmcnt(0)                                       // 00000000C464: BF8CC07F
	buffer_store_dwordx4 v[56:59], v220, s[8:11], 0 offen      // 00000000C468: E07C1000 800238DC
	v_add_u32_e32 v219, s56, v219                              // 00000000C470: 69B7B638
	v_add_u32_e32 v220, s56, v220                              // 00000000C474: 69B9B838
	v_permlane16_swap_b32_e32 v92, v96                         // 00000000C478: 7EB8B360
	v_permlane16_swap_b32_e32 v93, v97                         // 00000000C47C: 7EBAB361
	v_permlane16_swap_b32_e32 v94, v98                         // 00000000C480: 7EBCB362
	v_permlane16_swap_b32_e32 v95, v99                         // 00000000C484: 7EBEB363
	ds_bpermute_b32 v44, v35, v92                              // 00000000C488: D87E0000 2C005C23
	ds_bpermute_b32 v45, v35, v93                              // 00000000C490: D87E0000 2D005D23
	ds_bpermute_b32 v46, v35, v94                              // 00000000C498: D87E0000 2E005E23
	ds_bpermute_b32 v47, v35, v95                              // 00000000C4A0: D87E0000 2F005F23
	ds_bpermute_b32 v48, v35, v96                              // 00000000C4A8: D87E0000 30006023
	ds_bpermute_b32 v49, v35, v97                              // 00000000C4B0: D87E0000 31006123
	ds_bpermute_b32 v50, v35, v98                              // 00000000C4B8: D87E0000 32006223
	ds_bpermute_b32 v51, v35, v99                              // 00000000C4C0: D87E0000 33006323
	v_permlane16_swap_b32_e32 v100, v104                       // 00000000C4C8: 7EC8B368
	v_permlane16_swap_b32_e32 v101, v105                       // 00000000C4CC: 7ECAB369
	v_permlane16_swap_b32_e32 v102, v106                       // 00000000C4D0: 7ECCB36A
	v_permlane16_swap_b32_e32 v103, v107                       // 00000000C4D4: 7ECEB36B
	ds_bpermute_b32 v52, v35, v100                             // 00000000C4D8: D87E0000 34006423
	ds_bpermute_b32 v53, v35, v101                             // 00000000C4E0: D87E0000 35006523
	ds_bpermute_b32 v54, v35, v102                             // 00000000C4E8: D87E0000 36006623
	ds_bpermute_b32 v55, v35, v103                             // 00000000C4F0: D87E0000 37006723
	ds_bpermute_b32 v56, v35, v104                             // 00000000C4F8: D87E0000 38006823
	ds_bpermute_b32 v57, v35, v105                             // 00000000C500: D87E0000 39006923
	ds_bpermute_b32 v58, v35, v106                             // 00000000C508: D87E0000 3A006A23
	ds_bpermute_b32 v59, v35, v107                             // 00000000C510: D87E0000 3B006B23
	s_waitcnt lgkmcnt(12)                                      // 00000000C518: BF8CCC7F
	buffer_store_dwordx4 v[44:47], v219, s[8:11], 0 offen      // 00000000C51C: E07C1000 80022CDB
	s_waitcnt lgkmcnt(8)                                       // 00000000C524: BF8CC87F
	buffer_store_dwordx4 v[48:51], v220, s[8:11], 0 offen      // 00000000C528: E07C1000 800230DC
	s_mov_b32 s56, 64                                          // 00000000C530: BEB800C0
	v_add_u32_e32 v219, s56, v219                              // 00000000C534: 69B7B638
	v_add_u32_e32 v220, s56, v220                              // 00000000C538: 69B9B838
	s_waitcnt lgkmcnt(4)                                       // 00000000C53C: BF8CC47F
	buffer_store_dwordx4 v[52:55], v219, s[8:11], 0 offen      // 00000000C540: E07C1000 800234DB
	s_waitcnt lgkmcnt(0)                                       // 00000000C548: BF8CC07F
	buffer_store_dwordx4 v[56:59], v220, s[8:11], 0 offen      // 00000000C54C: E07C1000 800238DC
	v_add_u32_e32 v219, s56, v219                              // 00000000C554: 69B7B638
	v_add_u32_e32 v220, s56, v220                              // 00000000C558: 69B9B838
	v_permlane16_swap_b32_e32 v108, v112                       // 00000000C55C: 7ED8B370
	v_permlane16_swap_b32_e32 v109, v113                       // 00000000C560: 7EDAB371
	v_permlane16_swap_b32_e32 v110, v114                       // 00000000C564: 7EDCB372
	v_permlane16_swap_b32_e32 v111, v115                       // 00000000C568: 7EDEB373
	ds_bpermute_b32 v44, v35, v108                             // 00000000C56C: D87E0000 2C006C23
	ds_bpermute_b32 v45, v35, v109                             // 00000000C574: D87E0000 2D006D23
	ds_bpermute_b32 v46, v35, v110                             // 00000000C57C: D87E0000 2E006E23
	ds_bpermute_b32 v47, v35, v111                             // 00000000C584: D87E0000 2F006F23
	ds_bpermute_b32 v48, v35, v112                             // 00000000C58C: D87E0000 30007023
	ds_bpermute_b32 v49, v35, v113                             // 00000000C594: D87E0000 31007123
	ds_bpermute_b32 v50, v35, v114                             // 00000000C59C: D87E0000 32007223
	ds_bpermute_b32 v51, v35, v115                             // 00000000C5A4: D87E0000 33007323
	v_permlane16_swap_b32_e32 v116, v120                       // 00000000C5AC: 7EE8B378
	v_permlane16_swap_b32_e32 v117, v121                       // 00000000C5B0: 7EEAB379
	v_permlane16_swap_b32_e32 v118, v122                       // 00000000C5B4: 7EECB37A
	v_permlane16_swap_b32_e32 v119, v123                       // 00000000C5B8: 7EEEB37B
	ds_bpermute_b32 v52, v35, v116                             // 00000000C5BC: D87E0000 34007423
	ds_bpermute_b32 v53, v35, v117                             // 00000000C5C4: D87E0000 35007523
	ds_bpermute_b32 v54, v35, v118                             // 00000000C5CC: D87E0000 36007623
	ds_bpermute_b32 v55, v35, v119                             // 00000000C5D4: D87E0000 37007723
	ds_bpermute_b32 v56, v35, v120                             // 00000000C5DC: D87E0000 38007823
	ds_bpermute_b32 v57, v35, v121                             // 00000000C5E4: D87E0000 39007923
	ds_bpermute_b32 v58, v35, v122                             // 00000000C5EC: D87E0000 3A007A23
	ds_bpermute_b32 v59, v35, v123                             // 00000000C5F4: D87E0000 3B007B23
	s_waitcnt lgkmcnt(12)                                      // 00000000C5FC: BF8CCC7F
	buffer_store_dwordx4 v[44:47], v219, s[8:11], 0 offen      // 00000000C600: E07C1000 80022CDB
	s_waitcnt lgkmcnt(8)                                       // 00000000C608: BF8CC87F
	buffer_store_dwordx4 v[48:51], v220, s[8:11], 0 offen      // 00000000C60C: E07C1000 800230DC
	s_mov_b32 s56, 64                                          // 00000000C614: BEB800C0
	v_add_u32_e32 v219, s56, v219                              // 00000000C618: 69B7B638
	v_add_u32_e32 v220, s56, v220                              // 00000000C61C: 69B9B838
	s_waitcnt lgkmcnt(4)                                       // 00000000C620: BF8CC47F
	buffer_store_dwordx4 v[52:55], v219, s[8:11], 0 offen      // 00000000C624: E07C1000 800234DB
	s_waitcnt lgkmcnt(0)                                       // 00000000C62C: BF8CC07F
	buffer_store_dwordx4 v[56:59], v220, s[8:11], 0 offen      // 00000000C630: E07C1000 800238DC
	v_add_u32_e32 v219, s56, v219                              // 00000000C638: 69B7B638
	v_add_u32_e32 v220, s56, v220                              // 00000000C63C: 69B9B838
	v_permlane16_swap_b32_e32 v124, v128                       // 00000000C640: 7EF8B380
	v_permlane16_swap_b32_e32 v125, v129                       // 00000000C644: 7EFAB381
	v_permlane16_swap_b32_e32 v126, v130                       // 00000000C648: 7EFCB382
	v_permlane16_swap_b32_e32 v127, v131                       // 00000000C64C: 7EFEB383
	ds_bpermute_b32 v44, v35, v124                             // 00000000C650: D87E0000 2C007C23
	ds_bpermute_b32 v45, v35, v125                             // 00000000C658: D87E0000 2D007D23
	ds_bpermute_b32 v46, v35, v126                             // 00000000C660: D87E0000 2E007E23
	ds_bpermute_b32 v47, v35, v127                             // 00000000C668: D87E0000 2F007F23
	ds_bpermute_b32 v48, v35, v128                             // 00000000C670: D87E0000 30008023
	ds_bpermute_b32 v49, v35, v129                             // 00000000C678: D87E0000 31008123
	ds_bpermute_b32 v50, v35, v130                             // 00000000C680: D87E0000 32008223
	ds_bpermute_b32 v51, v35, v131                             // 00000000C688: D87E0000 33008323
	v_permlane16_swap_b32_e32 v132, v136                       // 00000000C690: 7F08B388
	v_permlane16_swap_b32_e32 v133, v137                       // 00000000C694: 7F0AB389
	v_permlane16_swap_b32_e32 v134, v138                       // 00000000C698: 7F0CB38A
	v_permlane16_swap_b32_e32 v135, v139                       // 00000000C69C: 7F0EB38B
	ds_bpermute_b32 v52, v35, v132                             // 00000000C6A0: D87E0000 34008423
	ds_bpermute_b32 v53, v35, v133                             // 00000000C6A8: D87E0000 35008523
	ds_bpermute_b32 v54, v35, v134                             // 00000000C6B0: D87E0000 36008623
	ds_bpermute_b32 v55, v35, v135                             // 00000000C6B8: D87E0000 37008723
	ds_bpermute_b32 v56, v35, v136                             // 00000000C6C0: D87E0000 38008823
	ds_bpermute_b32 v57, v35, v137                             // 00000000C6C8: D87E0000 39008923
	ds_bpermute_b32 v58, v35, v138                             // 00000000C6D0: D87E0000 3A008A23
	ds_bpermute_b32 v59, v35, v139                             // 00000000C6D8: D87E0000 3B008B23
	s_waitcnt lgkmcnt(12)                                      // 00000000C6E0: BF8CCC7F
	buffer_store_dwordx4 v[44:47], v219, s[8:11], 0 offen      // 00000000C6E4: E07C1000 80022CDB
	s_waitcnt lgkmcnt(8)                                       // 00000000C6EC: BF8CC87F
	buffer_store_dwordx4 v[48:51], v220, s[8:11], 0 offen      // 00000000C6F0: E07C1000 800230DC
	s_mov_b32 s56, 64                                          // 00000000C6F8: BEB800C0
	v_add_u32_e32 v219, s56, v219                              // 00000000C6FC: 69B7B638
	v_add_u32_e32 v220, s56, v220                              // 00000000C700: 69B9B838
	s_waitcnt lgkmcnt(4)                                       // 00000000C704: BF8CC47F
	buffer_store_dwordx4 v[52:55], v219, s[8:11], 0 offen      // 00000000C708: E07C1000 800234DB
	s_waitcnt lgkmcnt(0)                                       // 00000000C710: BF8CC07F
	buffer_store_dwordx4 v[56:59], v220, s[8:11], 0 offen      // 00000000C714: E07C1000 800238DC
	v_add_u32_e32 v219, s56, v219                              // 00000000C71C: 69B7B638
	v_add_u32_e32 v220, s56, v220                              // 00000000C720: 69B9B838
	v_permlane16_swap_b32_e32 v140, v144                       // 00000000C724: 7F18B390
	v_permlane16_swap_b32_e32 v141, v145                       // 00000000C728: 7F1AB391
	v_permlane16_swap_b32_e32 v142, v146                       // 00000000C72C: 7F1CB392
	v_permlane16_swap_b32_e32 v143, v147                       // 00000000C730: 7F1EB393
	ds_bpermute_b32 v44, v35, v140                             // 00000000C734: D87E0000 2C008C23
	ds_bpermute_b32 v45, v35, v141                             // 00000000C73C: D87E0000 2D008D23
	ds_bpermute_b32 v46, v35, v142                             // 00000000C744: D87E0000 2E008E23
	ds_bpermute_b32 v47, v35, v143                             // 00000000C74C: D87E0000 2F008F23
	ds_bpermute_b32 v48, v35, v144                             // 00000000C754: D87E0000 30009023
	ds_bpermute_b32 v49, v35, v145                             // 00000000C75C: D87E0000 31009123
	ds_bpermute_b32 v50, v35, v146                             // 00000000C764: D87E0000 32009223
	ds_bpermute_b32 v51, v35, v147                             // 00000000C76C: D87E0000 33009323
	v_permlane16_swap_b32_e32 v148, v152                       // 00000000C774: 7F28B398
	v_permlane16_swap_b32_e32 v149, v153                       // 00000000C778: 7F2AB399
	v_permlane16_swap_b32_e32 v150, v154                       // 00000000C77C: 7F2CB39A
	v_permlane16_swap_b32_e32 v151, v155                       // 00000000C780: 7F2EB39B
	ds_bpermute_b32 v52, v35, v148                             // 00000000C784: D87E0000 34009423
	ds_bpermute_b32 v53, v35, v149                             // 00000000C78C: D87E0000 35009523
	ds_bpermute_b32 v54, v35, v150                             // 00000000C794: D87E0000 36009623
	ds_bpermute_b32 v55, v35, v151                             // 00000000C79C: D87E0000 37009723
	ds_bpermute_b32 v56, v35, v152                             // 00000000C7A4: D87E0000 38009823
	ds_bpermute_b32 v57, v35, v153                             // 00000000C7AC: D87E0000 39009923
	ds_bpermute_b32 v58, v35, v154                             // 00000000C7B4: D87E0000 3A009A23
	ds_bpermute_b32 v59, v35, v155                             // 00000000C7BC: D87E0000 3B009B23
	s_waitcnt lgkmcnt(12)                                      // 00000000C7C4: BF8CCC7F
	buffer_store_dwordx4 v[44:47], v219, s[8:11], 0 offen      // 00000000C7C8: E07C1000 80022CDB
	s_waitcnt lgkmcnt(8)                                       // 00000000C7D0: BF8CC87F
	buffer_store_dwordx4 v[48:51], v220, s[8:11], 0 offen      // 00000000C7D4: E07C1000 800230DC
	s_mov_b32 s56, 64                                          // 00000000C7DC: BEB800C0
	v_add_u32_e32 v219, s56, v219                              // 00000000C7E0: 69B7B638
	v_add_u32_e32 v220, s56, v220                              // 00000000C7E4: 69B9B838
	s_waitcnt lgkmcnt(4)                                       // 00000000C7E8: BF8CC47F
	buffer_store_dwordx4 v[52:55], v219, s[8:11], 0 offen      // 00000000C7EC: E07C1000 800234DB
	s_waitcnt lgkmcnt(0)                                       // 00000000C7F4: BF8CC07F
	buffer_store_dwordx4 v[56:59], v220, s[8:11], 0 offen      // 00000000C7F8: E07C1000 800238DC
	v_add_u32_e32 v219, s56, v219                              // 00000000C800: 69B7B638
	v_add_u32_e32 v220, s56, v220                              // 00000000C804: 69B9B838
	v_permlane16_swap_b32_e32 v156, v160                       // 00000000C808: 7F38B3A0
	v_permlane16_swap_b32_e32 v157, v161                       // 00000000C80C: 7F3AB3A1
	v_permlane16_swap_b32_e32 v158, v162                       // 00000000C810: 7F3CB3A2
	v_permlane16_swap_b32_e32 v159, v163                       // 00000000C814: 7F3EB3A3
	ds_bpermute_b32 v44, v35, v156                             // 00000000C818: D87E0000 2C009C23
	ds_bpermute_b32 v45, v35, v157                             // 00000000C820: D87E0000 2D009D23
	ds_bpermute_b32 v46, v35, v158                             // 00000000C828: D87E0000 2E009E23
	ds_bpermute_b32 v47, v35, v159                             // 00000000C830: D87E0000 2F009F23
	ds_bpermute_b32 v48, v35, v160                             // 00000000C838: D87E0000 3000A023
	ds_bpermute_b32 v49, v35, v161                             // 00000000C840: D87E0000 3100A123
	ds_bpermute_b32 v50, v35, v162                             // 00000000C848: D87E0000 3200A223
	ds_bpermute_b32 v51, v35, v163                             // 00000000C850: D87E0000 3300A323
	v_permlane16_swap_b32_e32 v164, v168                       // 00000000C858: 7F48B3A8
	v_permlane16_swap_b32_e32 v165, v169                       // 00000000C85C: 7F4AB3A9
	v_permlane16_swap_b32_e32 v166, v170                       // 00000000C860: 7F4CB3AA
	v_permlane16_swap_b32_e32 v167, v171                       // 00000000C864: 7F4EB3AB
	ds_bpermute_b32 v52, v35, v164                             // 00000000C868: D87E0000 3400A423
	ds_bpermute_b32 v53, v35, v165                             // 00000000C870: D87E0000 3500A523
	ds_bpermute_b32 v54, v35, v166                             // 00000000C878: D87E0000 3600A623
	ds_bpermute_b32 v55, v35, v167                             // 00000000C880: D87E0000 3700A723
	ds_bpermute_b32 v56, v35, v168                             // 00000000C888: D87E0000 3800A823
	ds_bpermute_b32 v57, v35, v169                             // 00000000C890: D87E0000 3900A923
	ds_bpermute_b32 v58, v35, v170                             // 00000000C898: D87E0000 3A00AA23
	ds_bpermute_b32 v59, v35, v171                             // 00000000C8A0: D87E0000 3B00AB23
	s_waitcnt lgkmcnt(12)                                      // 00000000C8A8: BF8CCC7F
	buffer_store_dwordx4 v[44:47], v219, s[8:11], 0 offen      // 00000000C8AC: E07C1000 80022CDB
	s_waitcnt lgkmcnt(8)                                       // 00000000C8B4: BF8CC87F
	buffer_store_dwordx4 v[48:51], v220, s[8:11], 0 offen      // 00000000C8B8: E07C1000 800230DC
	s_mov_b32 s56, 64                                          // 00000000C8C0: BEB800C0
	v_add_u32_e32 v219, s56, v219                              // 00000000C8C4: 69B7B638
	v_add_u32_e32 v220, s56, v220                              // 00000000C8C8: 69B9B838
	s_waitcnt lgkmcnt(4)                                       // 00000000C8CC: BF8CC47F
	buffer_store_dwordx4 v[52:55], v219, s[8:11], 0 offen      // 00000000C8D0: E07C1000 800234DB
	s_waitcnt lgkmcnt(0)                                       // 00000000C8D8: BF8CC07F
	buffer_store_dwordx4 v[56:59], v220, s[8:11], 0 offen      // 00000000C8DC: E07C1000 800238DC
	v_add_u32_e32 v219, s56, v219                              // 00000000C8E4: 69B7B638
	v_add_u32_e32 v220, s56, v220                              // 00000000C8E8: 69B9B838
	v_permlane16_swap_b32_e32 v172, v176                       // 00000000C8EC: 7F58B3B0
	v_permlane16_swap_b32_e32 v173, v177                       // 00000000C8F0: 7F5AB3B1
	v_permlane16_swap_b32_e32 v174, v178                       // 00000000C8F4: 7F5CB3B2
	v_permlane16_swap_b32_e32 v175, v179                       // 00000000C8F8: 7F5EB3B3
	ds_bpermute_b32 v44, v35, v172                             // 00000000C8FC: D87E0000 2C00AC23
	ds_bpermute_b32 v45, v35, v173                             // 00000000C904: D87E0000 2D00AD23
	ds_bpermute_b32 v46, v35, v174                             // 00000000C90C: D87E0000 2E00AE23
	ds_bpermute_b32 v47, v35, v175                             // 00000000C914: D87E0000 2F00AF23
	ds_bpermute_b32 v48, v35, v176                             // 00000000C91C: D87E0000 3000B023
	ds_bpermute_b32 v49, v35, v177                             // 00000000C924: D87E0000 3100B123
	ds_bpermute_b32 v50, v35, v178                             // 00000000C92C: D87E0000 3200B223
	ds_bpermute_b32 v51, v35, v179                             // 00000000C934: D87E0000 3300B323
	v_permlane16_swap_b32_e32 v180, v184                       // 00000000C93C: 7F68B3B8
	v_permlane16_swap_b32_e32 v181, v185                       // 00000000C940: 7F6AB3B9
	v_permlane16_swap_b32_e32 v182, v186                       // 00000000C944: 7F6CB3BA
	v_permlane16_swap_b32_e32 v183, v187                       // 00000000C948: 7F6EB3BB
	ds_bpermute_b32 v52, v35, v180                             // 00000000C94C: D87E0000 3400B423
	ds_bpermute_b32 v53, v35, v181                             // 00000000C954: D87E0000 3500B523
	ds_bpermute_b32 v54, v35, v182                             // 00000000C95C: D87E0000 3600B623
	ds_bpermute_b32 v55, v35, v183                             // 00000000C964: D87E0000 3700B723
	ds_bpermute_b32 v56, v35, v184                             // 00000000C96C: D87E0000 3800B823
	ds_bpermute_b32 v57, v35, v185                             // 00000000C974: D87E0000 3900B923
	ds_bpermute_b32 v58, v35, v186                             // 00000000C97C: D87E0000 3A00BA23
	ds_bpermute_b32 v59, v35, v187                             // 00000000C984: D87E0000 3B00BB23
	s_waitcnt lgkmcnt(12)                                      // 00000000C98C: BF8CCC7F
	buffer_store_dwordx4 v[44:47], v219, s[8:11], 0 offen      // 00000000C990: E07C1000 80022CDB
	s_waitcnt lgkmcnt(8)                                       // 00000000C998: BF8CC87F
	buffer_store_dwordx4 v[48:51], v220, s[8:11], 0 offen      // 00000000C99C: E07C1000 800230DC
	s_mov_b32 s56, 64                                          // 00000000C9A4: BEB800C0
	v_add_u32_e32 v219, s56, v219                              // 00000000C9A8: 69B7B638
	v_add_u32_e32 v220, s56, v220                              // 00000000C9AC: 69B9B838
	s_waitcnt lgkmcnt(4)                                       // 00000000C9B0: BF8CC47F
	buffer_store_dwordx4 v[52:55], v219, s[8:11], 0 offen      // 00000000C9B4: E07C1000 800234DB
	s_waitcnt lgkmcnt(0)                                       // 00000000C9BC: BF8CC07F
	buffer_store_dwordx4 v[56:59], v220, s[8:11], 0 offen      // 00000000C9C0: E07C1000 800238DC
	v_add_u32_e32 v219, s56, v219                              // 00000000C9C8: 69B7B638
	v_add_u32_e32 v220, s56, v220                              // 00000000C9CC: 69B9B838
	v_permlane16_swap_b32_e32 v188, v192                       // 00000000C9D0: 7F78B3C0
	v_permlane16_swap_b32_e32 v189, v193                       // 00000000C9D4: 7F7AB3C1
	v_permlane16_swap_b32_e32 v190, v194                       // 00000000C9D8: 7F7CB3C2
	v_permlane16_swap_b32_e32 v191, v195                       // 00000000C9DC: 7F7EB3C3
	ds_bpermute_b32 v44, v35, v188                             // 00000000C9E0: D87E0000 2C00BC23
	ds_bpermute_b32 v45, v35, v189                             // 00000000C9E8: D87E0000 2D00BD23
	ds_bpermute_b32 v46, v35, v190                             // 00000000C9F0: D87E0000 2E00BE23
	ds_bpermute_b32 v47, v35, v191                             // 00000000C9F8: D87E0000 2F00BF23
	ds_bpermute_b32 v48, v35, v192                             // 00000000CA00: D87E0000 3000C023
	ds_bpermute_b32 v49, v35, v193                             // 00000000CA08: D87E0000 3100C123
	ds_bpermute_b32 v50, v35, v194                             // 00000000CA10: D87E0000 3200C223
	ds_bpermute_b32 v51, v35, v195                             // 00000000CA18: D87E0000 3300C323
	v_permlane16_swap_b32_e32 v196, v200                       // 00000000CA20: 7F88B3C8
	v_permlane16_swap_b32_e32 v197, v201                       // 00000000CA24: 7F8AB3C9
	v_permlane16_swap_b32_e32 v198, v202                       // 00000000CA28: 7F8CB3CA
	v_permlane16_swap_b32_e32 v199, v203                       // 00000000CA2C: 7F8EB3CB
	ds_bpermute_b32 v52, v35, v196                             // 00000000CA30: D87E0000 3400C423
	ds_bpermute_b32 v53, v35, v197                             // 00000000CA38: D87E0000 3500C523
	ds_bpermute_b32 v54, v35, v198                             // 00000000CA40: D87E0000 3600C623
	ds_bpermute_b32 v55, v35, v199                             // 00000000CA48: D87E0000 3700C723
	ds_bpermute_b32 v56, v35, v200                             // 00000000CA50: D87E0000 3800C823
	ds_bpermute_b32 v57, v35, v201                             // 00000000CA58: D87E0000 3900C923
	ds_bpermute_b32 v58, v35, v202                             // 00000000CA60: D87E0000 3A00CA23
	ds_bpermute_b32 v59, v35, v203                             // 00000000CA68: D87E0000 3B00CB23
	s_waitcnt lgkmcnt(12)                                      // 00000000CA70: BF8CCC7F
	buffer_store_dwordx4 v[44:47], v219, s[8:11], 0 offen      // 00000000CA74: E07C1000 80022CDB
	s_waitcnt lgkmcnt(8)                                       // 00000000CA7C: BF8CC87F
	buffer_store_dwordx4 v[48:51], v220, s[8:11], 0 offen      // 00000000CA80: E07C1000 800230DC
	s_mov_b32 s56, 64                                          // 00000000CA88: BEB800C0
	v_add_u32_e32 v219, s56, v219                              // 00000000CA8C: 69B7B638
	v_add_u32_e32 v220, s56, v220                              // 00000000CA90: 69B9B838
	s_waitcnt lgkmcnt(4)                                       // 00000000CA94: BF8CC47F
	buffer_store_dwordx4 v[52:55], v219, s[8:11], 0 offen      // 00000000CA98: E07C1000 800234DB
	s_waitcnt lgkmcnt(0)                                       // 00000000CAA0: BF8CC07F
	buffer_store_dwordx4 v[56:59], v220, s[8:11], 0 offen      // 00000000CAA4: E07C1000 800238DC
	v_add_u32_e32 v219, s56, v219                              // 00000000CAAC: 69B7B638
	v_add_u32_e32 v220, s56, v220                              // 00000000CAB0: 69B9B838
	buffer_store_dword v218, v221, s[12:15], 0 offen           // 00000000CAB4: E0701000 8003DADD
	s_branch label_AD98                                        // 00000000CABC: BF8201B6

000000000000cac0 <label_A6C0>:
	s_mul_i32 s75, 0x400, 16                                   // 00000000CAC0: 924B90FF 00000400
	s_mov_b32 s56, s79                                         // 00000000CAC8: BEB8004F
	s_mul_i32 s56, s56, s75                                    // 00000000CACC: 92384B38
	s_add_u32 s8, s56, s8                                      // 00000000CAD0: 80080838
	s_addc_u32 s9, 0, s9                                       // 00000000CAD4: 82090980
	s_mul_i32 s56, s75, s81                                    // 00000000CAD8: 9238514B
	s_mov_b32 s10, s56                                         // 00000000CADC: BE8A0038
	s_mov_b32 s57, 0x8000                                      // 00000000CAE0: BEB900FF 00008000
	s_lshr_b32 s56, s7, 1                                      // 00000000CAE8: 8F388107
	s_mul_i32 s56, s56, s57                                    // 00000000CAEC: 92383938
	s_mov_b32 s58, 0x200                                       // 00000000CAF0: BEBA00FF 00000200
	s_and_b32 s57, 1, s7                                       // 00000000CAF8: 86390781
	s_mul_i32 s57, s57, s58                                    // 00000000CAFC: 92393A39
	s_add_u32 s56, s56, s57                                    // 00000000CB00: 80383938
	v_lshrrev_b32_e32 v219, 2, v0                              // 00000000CB04: 21B60082
	s_mov_b32 s57, 0x400                                       // 00000000CB08: BEB900FF 00000400
	v_mul_i32_i24_e32 v219, s57, v219                          // 00000000CB10: 0DB7B639
	v_and_b32_e32 v35, 3, v0                                   // 00000000CB14: 26460083
	v_lshlrev_b32_e32 v35, 4, v35                              // 00000000CB18: 24464684
	v_add_u32_e32 v219, v35, v219                              // 00000000CB1C: 69B7B723
	v_add_u32_e32 v219, s56, v219                              // 00000000CB20: 69B7B638
	s_mov_b32 s57, 0x4000                                      // 00000000CB24: BEB900FF 00004000
	v_add_u32_e32 v220, s57, v219                              // 00000000CB2C: 69B9B639
	v_and_b32_e32 v35, 1, v0                                   // 00000000CB30: 26460081
	v_lshlrev_b32_e32 v35, 5, v35                              // 00000000CB34: 24464685
	v_and_b32_e32 v36, 3, v0                                   // 00000000CB38: 26480083
	v_lshrrev_b32_e32 v36, 1, v36                              // 00000000CB3C: 20484881
	v_lshlrev_b32_e32 v36, 4, v36                              // 00000000CB40: 24484884
	v_add_u32_e32 v35, v35, v36                                // 00000000CB44: 68464923
	v_lshrrev_b32_e32 v36, 2, v0                               // 00000000CB48: 20480082
	v_add_u32_e32 v35, v35, v36                                // 00000000CB4C: 68464923
	v_lshlrev_b32_e32 v35, 2, v35                              // 00000000CB50: 24464682
	v_lshlrev_b32_e32 v37, 4, v0                               // 00000000CB54: 244A0084
	v_cvt_pk_bf16_f32 v76, v76, v77                            // 00000000CB58: D268004C 00029B4C
	v_cvt_pk_bf16_f32 v77, v78, v79                            // 00000000CB60: D268004D 00029F4E
	v_cvt_pk_bf16_f32 v78, v80, v81                            // 00000000CB68: D268004E 0002A350
	v_cvt_pk_bf16_f32 v79, v82, v83                            // 00000000CB70: D268004F 0002A752
	v_cvt_pk_bf16_f32 v80, v84, v85                            // 00000000CB78: D2680050 0002AB54
	v_cvt_pk_bf16_f32 v81, v86, v87                            // 00000000CB80: D2680051 0002AF56
	v_cvt_pk_bf16_f32 v82, v88, v89                            // 00000000CB88: D2680052 0002B358
	v_cvt_pk_bf16_f32 v83, v90, v91                            // 00000000CB90: D2680053 0002B75A
	v_permlane32_swap_b32_e32 v76, v78                         // 00000000CB98: 7E98B54E
	v_permlane32_swap_b32_e32 v77, v79                         // 00000000CB9C: 7E9AB54F
	v_permlane32_swap_b32_e32 v80, v82                         // 00000000CBA0: 7EA0B552
	v_permlane32_swap_b32_e32 v81, v83                         // 00000000CBA4: 7EA2B553
	s_nop 1                                                    // 00000000CBA8: BF800001
	v_permlane16_swap_b32_e32 v76, v80                         // 00000000CBAC: 7E98B350
	v_permlane16_swap_b32_e32 v77, v81                         // 00000000CBB0: 7E9AB351
	v_permlane16_swap_b32_e32 v78, v82                         // 00000000CBB4: 7E9CB352
	v_permlane16_swap_b32_e32 v79, v83                         // 00000000CBB8: 7E9EB353
	ds_bpermute_b32 v44, v35, v76                              // 00000000CBBC: D87E0000 2C004C23
	ds_bpermute_b32 v45, v35, v77                              // 00000000CBC4: D87E0000 2D004D23
	ds_bpermute_b32 v46, v35, v78                              // 00000000CBCC: D87E0000 2E004E23
	ds_bpermute_b32 v47, v35, v79                              // 00000000CBD4: D87E0000 2F004F23
	ds_bpermute_b32 v48, v35, v80                              // 00000000CBDC: D87E0000 30005023
	ds_bpermute_b32 v49, v35, v81                              // 00000000CBE4: D87E0000 31005123
	ds_bpermute_b32 v50, v35, v82                              // 00000000CBEC: D87E0000 32005223
	ds_bpermute_b32 v51, v35, v83                              // 00000000CBF4: D87E0000 33005323
	s_waitcnt lgkmcnt(4)                                       // 00000000CBFC: BF8CC47F
	buffer_store_dwordx4 v[44:47], v219, s[8:11], 0 offen      // 00000000CC00: E07C1000 80022CDB
	s_mov_b32 s56, 64                                          // 00000000CC08: BEB800C0
	v_add_u32_e32 v219, s56, v219                              // 00000000CC0C: 69B7B638
	s_waitcnt lgkmcnt(0)                                       // 00000000CC10: BF8CC07F
	buffer_store_dwordx4 v[48:51], v220, s[8:11], 0 offen      // 00000000CC14: E07C1000 800230DC
	v_add_u32_e32 v220, s56, v220                              // 00000000CC1C: 69B9B838
	v_cvt_pk_bf16_f32 v76, v92, v93                            // 00000000CC20: D268004C 0002BB5C
	v_cvt_pk_bf16_f32 v77, v94, v95                            // 00000000CC28: D268004D 0002BF5E
	v_cvt_pk_bf16_f32 v78, v96, v97                            // 00000000CC30: D268004E 0002C360
	v_cvt_pk_bf16_f32 v79, v98, v99                            // 00000000CC38: D268004F 0002C762
	v_cvt_pk_bf16_f32 v80, v100, v101                          // 00000000CC40: D2680050 0002CB64
	v_cvt_pk_bf16_f32 v81, v102, v103                          // 00000000CC48: D2680051 0002CF66
	v_cvt_pk_bf16_f32 v82, v104, v105                          // 00000000CC50: D2680052 0002D368
	v_cvt_pk_bf16_f32 v83, v106, v107                          // 00000000CC58: D2680053 0002D76A
	v_permlane32_swap_b32_e32 v76, v78                         // 00000000CC60: 7E98B54E
	v_permlane32_swap_b32_e32 v77, v79                         // 00000000CC64: 7E9AB54F
	v_permlane32_swap_b32_e32 v80, v82                         // 00000000CC68: 7EA0B552
	v_permlane32_swap_b32_e32 v81, v83                         // 00000000CC6C: 7EA2B553
	s_nop 1                                                    // 00000000CC70: BF800001
	v_permlane16_swap_b32_e32 v76, v80                         // 00000000CC74: 7E98B350
	v_permlane16_swap_b32_e32 v77, v81                         // 00000000CC78: 7E9AB351
	v_permlane16_swap_b32_e32 v78, v82                         // 00000000CC7C: 7E9CB352
	v_permlane16_swap_b32_e32 v79, v83                         // 00000000CC80: 7E9EB353
	ds_bpermute_b32 v44, v35, v76                              // 00000000CC84: D87E0000 2C004C23
	ds_bpermute_b32 v45, v35, v77                              // 00000000CC8C: D87E0000 2D004D23
	ds_bpermute_b32 v46, v35, v78                              // 00000000CC94: D87E0000 2E004E23
	ds_bpermute_b32 v47, v35, v79                              // 00000000CC9C: D87E0000 2F004F23
	ds_bpermute_b32 v48, v35, v80                              // 00000000CCA4: D87E0000 30005023
	ds_bpermute_b32 v49, v35, v81                              // 00000000CCAC: D87E0000 31005123
	ds_bpermute_b32 v50, v35, v82                              // 00000000CCB4: D87E0000 32005223
	ds_bpermute_b32 v51, v35, v83                              // 00000000CCBC: D87E0000 33005323
	s_waitcnt lgkmcnt(4)                                       // 00000000CCC4: BF8CC47F
	buffer_store_dwordx4 v[44:47], v219, s[8:11], 0 offen      // 00000000CCC8: E07C1000 80022CDB
	s_mov_b32 s56, 64                                          // 00000000CCD0: BEB800C0
	v_add_u32_e32 v219, s56, v219                              // 00000000CCD4: 69B7B638
	s_waitcnt lgkmcnt(0)                                       // 00000000CCD8: BF8CC07F
	buffer_store_dwordx4 v[48:51], v220, s[8:11], 0 offen      // 00000000CCDC: E07C1000 800230DC
	v_add_u32_e32 v220, s56, v220                              // 00000000CCE4: 69B9B838
	v_cvt_pk_bf16_f32 v76, v108, v109                          // 00000000CCE8: D268004C 0002DB6C
	v_cvt_pk_bf16_f32 v77, v110, v111                          // 00000000CCF0: D268004D 0002DF6E
	v_cvt_pk_bf16_f32 v78, v112, v113                          // 00000000CCF8: D268004E 0002E370
	v_cvt_pk_bf16_f32 v79, v114, v115                          // 00000000CD00: D268004F 0002E772
	v_cvt_pk_bf16_f32 v80, v116, v117                          // 00000000CD08: D2680050 0002EB74
	v_cvt_pk_bf16_f32 v81, v118, v119                          // 00000000CD10: D2680051 0002EF76
	v_cvt_pk_bf16_f32 v82, v120, v121                          // 00000000CD18: D2680052 0002F378
	v_cvt_pk_bf16_f32 v83, v122, v123                          // 00000000CD20: D2680053 0002F77A
	v_permlane32_swap_b32_e32 v76, v78                         // 00000000CD28: 7E98B54E
	v_permlane32_swap_b32_e32 v77, v79                         // 00000000CD2C: 7E9AB54F
	v_permlane32_swap_b32_e32 v80, v82                         // 00000000CD30: 7EA0B552
	v_permlane32_swap_b32_e32 v81, v83                         // 00000000CD34: 7EA2B553
	s_nop 1                                                    // 00000000CD38: BF800001
	v_permlane16_swap_b32_e32 v76, v80                         // 00000000CD3C: 7E98B350
	v_permlane16_swap_b32_e32 v77, v81                         // 00000000CD40: 7E9AB351
	v_permlane16_swap_b32_e32 v78, v82                         // 00000000CD44: 7E9CB352
	v_permlane16_swap_b32_e32 v79, v83                         // 00000000CD48: 7E9EB353
	ds_bpermute_b32 v44, v35, v76                              // 00000000CD4C: D87E0000 2C004C23
	ds_bpermute_b32 v45, v35, v77                              // 00000000CD54: D87E0000 2D004D23
	ds_bpermute_b32 v46, v35, v78                              // 00000000CD5C: D87E0000 2E004E23
	ds_bpermute_b32 v47, v35, v79                              // 00000000CD64: D87E0000 2F004F23
	ds_bpermute_b32 v48, v35, v80                              // 00000000CD6C: D87E0000 30005023
	ds_bpermute_b32 v49, v35, v81                              // 00000000CD74: D87E0000 31005123
	ds_bpermute_b32 v50, v35, v82                              // 00000000CD7C: D87E0000 32005223
	ds_bpermute_b32 v51, v35, v83                              // 00000000CD84: D87E0000 33005323
	s_waitcnt lgkmcnt(4)                                       // 00000000CD8C: BF8CC47F
	buffer_store_dwordx4 v[44:47], v219, s[8:11], 0 offen      // 00000000CD90: E07C1000 80022CDB
	s_mov_b32 s56, 64                                          // 00000000CD98: BEB800C0
	v_add_u32_e32 v219, s56, v219                              // 00000000CD9C: 69B7B638
	s_waitcnt lgkmcnt(0)                                       // 00000000CDA0: BF8CC07F
	buffer_store_dwordx4 v[48:51], v220, s[8:11], 0 offen      // 00000000CDA4: E07C1000 800230DC
	v_add_u32_e32 v220, s56, v220                              // 00000000CDAC: 69B9B838
	v_cvt_pk_bf16_f32 v76, v124, v125                          // 00000000CDB0: D268004C 0002FB7C
	v_cvt_pk_bf16_f32 v77, v126, v127                          // 00000000CDB8: D268004D 0002FF7E
	v_cvt_pk_bf16_f32 v78, v128, v129                          // 00000000CDC0: D268004E 00030380
	v_cvt_pk_bf16_f32 v79, v130, v131                          // 00000000CDC8: D268004F 00030782
	v_cvt_pk_bf16_f32 v80, v132, v133                          // 00000000CDD0: D2680050 00030B84
	v_cvt_pk_bf16_f32 v81, v134, v135                          // 00000000CDD8: D2680051 00030F86
	v_cvt_pk_bf16_f32 v82, v136, v137                          // 00000000CDE0: D2680052 00031388
	v_cvt_pk_bf16_f32 v83, v138, v139                          // 00000000CDE8: D2680053 0003178A
	v_permlane32_swap_b32_e32 v76, v78                         // 00000000CDF0: 7E98B54E
	v_permlane32_swap_b32_e32 v77, v79                         // 00000000CDF4: 7E9AB54F
	v_permlane32_swap_b32_e32 v80, v82                         // 00000000CDF8: 7EA0B552
	v_permlane32_swap_b32_e32 v81, v83                         // 00000000CDFC: 7EA2B553
	s_nop 1                                                    // 00000000CE00: BF800001
	v_permlane16_swap_b32_e32 v76, v80                         // 00000000CE04: 7E98B350
	v_permlane16_swap_b32_e32 v77, v81                         // 00000000CE08: 7E9AB351
	v_permlane16_swap_b32_e32 v78, v82                         // 00000000CE0C: 7E9CB352
	v_permlane16_swap_b32_e32 v79, v83                         // 00000000CE10: 7E9EB353
	ds_bpermute_b32 v44, v35, v76                              // 00000000CE14: D87E0000 2C004C23
	ds_bpermute_b32 v45, v35, v77                              // 00000000CE1C: D87E0000 2D004D23
	ds_bpermute_b32 v46, v35, v78                              // 00000000CE24: D87E0000 2E004E23
	ds_bpermute_b32 v47, v35, v79                              // 00000000CE2C: D87E0000 2F004F23
	ds_bpermute_b32 v48, v35, v80                              // 00000000CE34: D87E0000 30005023
	ds_bpermute_b32 v49, v35, v81                              // 00000000CE3C: D87E0000 31005123
	ds_bpermute_b32 v50, v35, v82                              // 00000000CE44: D87E0000 32005223
	ds_bpermute_b32 v51, v35, v83                              // 00000000CE4C: D87E0000 33005323
	s_waitcnt lgkmcnt(4)                                       // 00000000CE54: BF8CC47F
	buffer_store_dwordx4 v[44:47], v219, s[8:11], 0 offen      // 00000000CE58: E07C1000 80022CDB
	s_mov_b32 s56, 64                                          // 00000000CE60: BEB800C0
	v_add_u32_e32 v219, s56, v219                              // 00000000CE64: 69B7B638
	s_waitcnt lgkmcnt(0)                                       // 00000000CE68: BF8CC07F
	buffer_store_dwordx4 v[48:51], v220, s[8:11], 0 offen      // 00000000CE6C: E07C1000 800230DC
	v_add_u32_e32 v220, s56, v220                              // 00000000CE74: 69B9B838
	v_cvt_pk_bf16_f32 v76, v140, v141                          // 00000000CE78: D268004C 00031B8C
	v_cvt_pk_bf16_f32 v77, v142, v143                          // 00000000CE80: D268004D 00031F8E
	v_cvt_pk_bf16_f32 v78, v144, v145                          // 00000000CE88: D268004E 00032390
	v_cvt_pk_bf16_f32 v79, v146, v147                          // 00000000CE90: D268004F 00032792
	v_cvt_pk_bf16_f32 v80, v148, v149                          // 00000000CE98: D2680050 00032B94
	v_cvt_pk_bf16_f32 v81, v150, v151                          // 00000000CEA0: D2680051 00032F96
	v_cvt_pk_bf16_f32 v82, v152, v153                          // 00000000CEA8: D2680052 00033398
	v_cvt_pk_bf16_f32 v83, v154, v155                          // 00000000CEB0: D2680053 0003379A
	v_permlane32_swap_b32_e32 v76, v78                         // 00000000CEB8: 7E98B54E
	v_permlane32_swap_b32_e32 v77, v79                         // 00000000CEBC: 7E9AB54F
	v_permlane32_swap_b32_e32 v80, v82                         // 00000000CEC0: 7EA0B552
	v_permlane32_swap_b32_e32 v81, v83                         // 00000000CEC4: 7EA2B553
	s_nop 1                                                    // 00000000CEC8: BF800001
	v_permlane16_swap_b32_e32 v76, v80                         // 00000000CECC: 7E98B350
	v_permlane16_swap_b32_e32 v77, v81                         // 00000000CED0: 7E9AB351
	v_permlane16_swap_b32_e32 v78, v82                         // 00000000CED4: 7E9CB352
	v_permlane16_swap_b32_e32 v79, v83                         // 00000000CED8: 7E9EB353
	ds_bpermute_b32 v44, v35, v76                              // 00000000CEDC: D87E0000 2C004C23
	ds_bpermute_b32 v45, v35, v77                              // 00000000CEE4: D87E0000 2D004D23
	ds_bpermute_b32 v46, v35, v78                              // 00000000CEEC: D87E0000 2E004E23
	ds_bpermute_b32 v47, v35, v79                              // 00000000CEF4: D87E0000 2F004F23
	ds_bpermute_b32 v48, v35, v80                              // 00000000CEFC: D87E0000 30005023
	ds_bpermute_b32 v49, v35, v81                              // 00000000CF04: D87E0000 31005123
	ds_bpermute_b32 v50, v35, v82                              // 00000000CF0C: D87E0000 32005223
	ds_bpermute_b32 v51, v35, v83                              // 00000000CF14: D87E0000 33005323
	s_waitcnt lgkmcnt(4)                                       // 00000000CF1C: BF8CC47F
	buffer_store_dwordx4 v[44:47], v219, s[8:11], 0 offen      // 00000000CF20: E07C1000 80022CDB
	s_mov_b32 s56, 64                                          // 00000000CF28: BEB800C0
	v_add_u32_e32 v219, s56, v219                              // 00000000CF2C: 69B7B638
	s_waitcnt lgkmcnt(0)                                       // 00000000CF30: BF8CC07F
	buffer_store_dwordx4 v[48:51], v220, s[8:11], 0 offen      // 00000000CF34: E07C1000 800230DC
	v_add_u32_e32 v220, s56, v220                              // 00000000CF3C: 69B9B838
	v_cvt_pk_bf16_f32 v76, v156, v157                          // 00000000CF40: D268004C 00033B9C
	v_cvt_pk_bf16_f32 v77, v158, v159                          // 00000000CF48: D268004D 00033F9E
	v_cvt_pk_bf16_f32 v78, v160, v161                          // 00000000CF50: D268004E 000343A0
	v_cvt_pk_bf16_f32 v79, v162, v163                          // 00000000CF58: D268004F 000347A2
	v_cvt_pk_bf16_f32 v80, v164, v165                          // 00000000CF60: D2680050 00034BA4
	v_cvt_pk_bf16_f32 v81, v166, v167                          // 00000000CF68: D2680051 00034FA6
	v_cvt_pk_bf16_f32 v82, v168, v169                          // 00000000CF70: D2680052 000353A8
	v_cvt_pk_bf16_f32 v83, v170, v171                          // 00000000CF78: D2680053 000357AA
	v_permlane32_swap_b32_e32 v76, v78                         // 00000000CF80: 7E98B54E
	v_permlane32_swap_b32_e32 v77, v79                         // 00000000CF84: 7E9AB54F
	v_permlane32_swap_b32_e32 v80, v82                         // 00000000CF88: 7EA0B552
	v_permlane32_swap_b32_e32 v81, v83                         // 00000000CF8C: 7EA2B553
	s_nop 1                                                    // 00000000CF90: BF800001
	v_permlane16_swap_b32_e32 v76, v80                         // 00000000CF94: 7E98B350
	v_permlane16_swap_b32_e32 v77, v81                         // 00000000CF98: 7E9AB351
	v_permlane16_swap_b32_e32 v78, v82                         // 00000000CF9C: 7E9CB352
	v_permlane16_swap_b32_e32 v79, v83                         // 00000000CFA0: 7E9EB353
	ds_bpermute_b32 v44, v35, v76                              // 00000000CFA4: D87E0000 2C004C23
	ds_bpermute_b32 v45, v35, v77                              // 00000000CFAC: D87E0000 2D004D23
	ds_bpermute_b32 v46, v35, v78                              // 00000000CFB4: D87E0000 2E004E23
	ds_bpermute_b32 v47, v35, v79                              // 00000000CFBC: D87E0000 2F004F23
	ds_bpermute_b32 v48, v35, v80                              // 00000000CFC4: D87E0000 30005023
	ds_bpermute_b32 v49, v35, v81                              // 00000000CFCC: D87E0000 31005123
	ds_bpermute_b32 v50, v35, v82                              // 00000000CFD4: D87E0000 32005223
	ds_bpermute_b32 v51, v35, v83                              // 00000000CFDC: D87E0000 33005323
	s_waitcnt lgkmcnt(4)                                       // 00000000CFE4: BF8CC47F
	buffer_store_dwordx4 v[44:47], v219, s[8:11], 0 offen      // 00000000CFE8: E07C1000 80022CDB
	s_mov_b32 s56, 64                                          // 00000000CFF0: BEB800C0
	v_add_u32_e32 v219, s56, v219                              // 00000000CFF4: 69B7B638
	s_waitcnt lgkmcnt(0)                                       // 00000000CFF8: BF8CC07F
	buffer_store_dwordx4 v[48:51], v220, s[8:11], 0 offen      // 00000000CFFC: E07C1000 800230DC
	v_add_u32_e32 v220, s56, v220                              // 00000000D004: 69B9B838
	v_cvt_pk_bf16_f32 v76, v172, v173                          // 00000000D008: D268004C 00035BAC
	v_cvt_pk_bf16_f32 v77, v174, v175                          // 00000000D010: D268004D 00035FAE
	v_cvt_pk_bf16_f32 v78, v176, v177                          // 00000000D018: D268004E 000363B0
	v_cvt_pk_bf16_f32 v79, v178, v179                          // 00000000D020: D268004F 000367B2
	v_cvt_pk_bf16_f32 v80, v180, v181                          // 00000000D028: D2680050 00036BB4
	v_cvt_pk_bf16_f32 v81, v182, v183                          // 00000000D030: D2680051 00036FB6
	v_cvt_pk_bf16_f32 v82, v184, v185                          // 00000000D038: D2680052 000373B8
	v_cvt_pk_bf16_f32 v83, v186, v187                          // 00000000D040: D2680053 000377BA
	v_permlane32_swap_b32_e32 v76, v78                         // 00000000D048: 7E98B54E
	v_permlane32_swap_b32_e32 v77, v79                         // 00000000D04C: 7E9AB54F
	v_permlane32_swap_b32_e32 v80, v82                         // 00000000D050: 7EA0B552
	v_permlane32_swap_b32_e32 v81, v83                         // 00000000D054: 7EA2B553
	s_nop 1                                                    // 00000000D058: BF800001
	v_permlane16_swap_b32_e32 v76, v80                         // 00000000D05C: 7E98B350
	v_permlane16_swap_b32_e32 v77, v81                         // 00000000D060: 7E9AB351
	v_permlane16_swap_b32_e32 v78, v82                         // 00000000D064: 7E9CB352
	v_permlane16_swap_b32_e32 v79, v83                         // 00000000D068: 7E9EB353
	ds_bpermute_b32 v44, v35, v76                              // 00000000D06C: D87E0000 2C004C23
	ds_bpermute_b32 v45, v35, v77                              // 00000000D074: D87E0000 2D004D23
	ds_bpermute_b32 v46, v35, v78                              // 00000000D07C: D87E0000 2E004E23
	ds_bpermute_b32 v47, v35, v79                              // 00000000D084: D87E0000 2F004F23
	ds_bpermute_b32 v48, v35, v80                              // 00000000D08C: D87E0000 30005023
	ds_bpermute_b32 v49, v35, v81                              // 00000000D094: D87E0000 31005123
	ds_bpermute_b32 v50, v35, v82                              // 00000000D09C: D87E0000 32005223
	ds_bpermute_b32 v51, v35, v83                              // 00000000D0A4: D87E0000 33005323
	s_waitcnt lgkmcnt(4)                                       // 00000000D0AC: BF8CC47F
	buffer_store_dwordx4 v[44:47], v219, s[8:11], 0 offen      // 00000000D0B0: E07C1000 80022CDB
	s_mov_b32 s56, 64                                          // 00000000D0B8: BEB800C0
	v_add_u32_e32 v219, s56, v219                              // 00000000D0BC: 69B7B638
	s_waitcnt lgkmcnt(0)                                       // 00000000D0C0: BF8CC07F
	buffer_store_dwordx4 v[48:51], v220, s[8:11], 0 offen      // 00000000D0C4: E07C1000 800230DC
	v_add_u32_e32 v220, s56, v220                              // 00000000D0CC: 69B9B838
	v_cvt_pk_bf16_f32 v76, v188, v189                          // 00000000D0D0: D268004C 00037BBC
	v_cvt_pk_bf16_f32 v77, v190, v191                          // 00000000D0D8: D268004D 00037FBE
	v_cvt_pk_bf16_f32 v78, v192, v193                          // 00000000D0E0: D268004E 000383C0
	v_cvt_pk_bf16_f32 v79, v194, v195                          // 00000000D0E8: D268004F 000387C2
	v_cvt_pk_bf16_f32 v80, v196, v197                          // 00000000D0F0: D2680050 00038BC4
	v_cvt_pk_bf16_f32 v81, v198, v199                          // 00000000D0F8: D2680051 00038FC6
	v_cvt_pk_bf16_f32 v82, v200, v201                          // 00000000D100: D2680052 000393C8
	v_cvt_pk_bf16_f32 v83, v202, v203                          // 00000000D108: D2680053 000397CA
	v_permlane32_swap_b32_e32 v76, v78                         // 00000000D110: 7E98B54E
	v_permlane32_swap_b32_e32 v77, v79                         // 00000000D114: 7E9AB54F
	v_permlane32_swap_b32_e32 v80, v82                         // 00000000D118: 7EA0B552
	v_permlane32_swap_b32_e32 v81, v83                         // 00000000D11C: 7EA2B553
	s_nop 1                                                    // 00000000D120: BF800001
	v_permlane16_swap_b32_e32 v76, v80                         // 00000000D124: 7E98B350
	v_permlane16_swap_b32_e32 v77, v81                         // 00000000D128: 7E9AB351
	v_permlane16_swap_b32_e32 v78, v82                         // 00000000D12C: 7E9CB352
	v_permlane16_swap_b32_e32 v79, v83                         // 00000000D130: 7E9EB353
	ds_bpermute_b32 v44, v35, v76                              // 00000000D134: D87E0000 2C004C23
	ds_bpermute_b32 v45, v35, v77                              // 00000000D13C: D87E0000 2D004D23
	ds_bpermute_b32 v46, v35, v78                              // 00000000D144: D87E0000 2E004E23
	ds_bpermute_b32 v47, v35, v79                              // 00000000D14C: D87E0000 2F004F23
	ds_bpermute_b32 v48, v35, v80                              // 00000000D154: D87E0000 30005023
	ds_bpermute_b32 v49, v35, v81                              // 00000000D15C: D87E0000 31005123
	ds_bpermute_b32 v50, v35, v82                              // 00000000D164: D87E0000 32005223
	ds_bpermute_b32 v51, v35, v83                              // 00000000D16C: D87E0000 33005323
	s_waitcnt lgkmcnt(4)                                       // 00000000D174: BF8CC47F
	buffer_store_dwordx4 v[44:47], v219, s[8:11], 0 offen      // 00000000D178: E07C1000 80022CDB
	s_mov_b32 s56, 64                                          // 00000000D180: BEB800C0
	v_add_u32_e32 v219, s56, v219                              // 00000000D184: 69B7B638
	s_waitcnt lgkmcnt(0)                                       // 00000000D188: BF8CC07F
	buffer_store_dwordx4 v[48:51], v220, s[8:11], 0 offen      // 00000000D18C: E07C1000 800230DC
	v_add_u32_e32 v220, s56, v220                              // 00000000D194: 69B9B838

000000000000d198 <label_AD98>:
	s_waitcnt vmcnt(0) expcnt(0) lgkmcnt(0)                    // 00000000D198: BF8C0000
	s_endpgm                                                   // 00000000D19C: BF810000
